;; amdgpu-corpus repo=ROCm/aiter kind=harvested arch=n/a opt=n/a

/root/src/amdgpu-assembly/repos/ROCm__aiter/hsa/gfx950/pa/pa_bf16_perblockFp8_blk256_1tg_4w_qlen64_msk1_ps.co:	file format elf64-amdgpu

Disassembly of section .text:

0000000000002600 <_ZN5aiter44PA_A16W8_BLK256_1TG_4W_64mx1_64nx4_MTP_PS_PBE>:
	s_and_b32 s1, s1, 0xffff                                   // 000000002600: 8601FF01 0000FFFF
	s_load_dwordx2 s[4:5], s[0:1], 0x0                         // 000000002608: C0060100 00000000
	s_load_dwordx2 s[8:9], s[0:1], 0x10                        // 000000002610: C0060200 00000010
	s_load_dwordx2 s[12:13], s[0:1], 0x20                      // 000000002618: C0060300 00000020
	s_load_dwordx2 s[16:17], s[0:1], 0x30                      // 000000002620: C0060400 00000030
	s_load_dwordx2 s[42:43], s[0:1], 0x40                      // 000000002628: C0060A80 00000040
	s_load_dwordx2 s[40:41], s[0:1], 0x50                      // 000000002630: C0060A00 00000050
	s_load_dwordx2 s[20:21], s[0:1], 0x60                      // 000000002638: C0060500 00000060
	s_load_dwordx2 s[24:25], s[0:1], 0x70                      // 000000002640: C0060600 00000070
	s_load_dword s46, s[0:1], 0x80                             // 000000002648: C0020B80 00000080
	s_load_dword s48, s[0:1], 0x90                             // 000000002650: C0020C00 00000090
	s_load_dword s49, s[0:1], 0xa0                             // 000000002658: C0020C40 000000A0
	s_load_dword s50, s[0:1], 0xb0                             // 000000002660: C0020C80 000000B0
	s_load_dword s51, s[0:1], 0xc0                             // 000000002668: C0020CC0 000000C0
	s_load_dword s52, s[0:1], 0xd0                             // 000000002670: C0020D00 000000D0
	s_load_dword s53, s[0:1], 0xe0                             // 000000002678: C0020D40 000000E0
	s_load_dwordx2 s[44:45], s[0:1], 0x100                     // 000000002680: C0060B00 00000100
	s_load_dwordx2 s[36:37], s[0:1], 0x110                     // 000000002688: C0060900 00000110
	s_load_dwordx2 s[38:39], s[0:1], 0x120                     // 000000002690: C0060980 00000120
	s_load_dwordx2 s[28:29], s[0:1], 0x130                     // 000000002698: C0060700 00000130
	s_load_dwordx2 s[32:33], s[0:1], 0x140                     // 0000000026A0: C0060800 00000140
	v_lshrrev_b32_e32 v1, 10, v0                               // 0000000026A8: 2002008A
	v_lshrrev_b32_e32 v2, 10, v1                               // 0000000026AC: 2004028A
	v_and_b32_e32 v2, 0x3ff, v2                                // 0000000026B0: 260404FF 000003FF
	v_and_b32_e32 v1, 0x3ff, v1                                // 0000000026B8: 260202FF 000003FF
	v_and_b32_e32 v0, 0x3ff, v0                                // 0000000026C0: 260000FF 000003FF
	v_lshrrev_b32_e32 v3, 6, v0                                // 0000000026C8: 20060086
	v_and_b32_e32 v0, 63, v0                                   // 0000000026CC: 260000BF
	s_mov_b32 s58, s2                                          // 0000000026D0: BEBA0002
	v_readfirstlane_b32 s57, v3                                // 0000000026D4: 7E720503
	s_mov_b32 s56, 0x7060302                                   // 0000000026D8: BEB800FF 07060302
	v_mov_b32_e32 v208, 0xffff0000                             // 0000000026E0: 7FA002FF FFFF0000
	v_mov_b32_e32 v209, 0x7fff0000                             // 0000000026E8: 7FA202FF 7FFF0000
	v_mov_b32_e32 v210, 0x7fff                                 // 0000000026F0: 7FA402FF 00007FFF
	v_mov_b32_e32 v216, 0xff800000                             // 0000000026F8: 7FB002FF FF800000
	v_lshrrev_b32_e32 v196, 4, v0                              // 000000002700: 21880084
	v_and_b32_e32 v197, 15, v0                                 // 000000002704: 278A008F
	v_add_u32_e32 v198, 1, v196                                // 000000002708: 698D8881
	v_and_b32_e32 v200, 3, v198                                // 00000000270C: 27918C83
	v_lshlrev_b32_e32 v200, 4, v200                            // 000000002710: 25919084
	v_add_u32_e32 v200, v197, v200                             // 000000002714: 699191C5
	v_lshlrev_b32_e32 v200, 2, v200                            // 000000002718: 25919082
	v_add_u32_e32 v198, 2, v196                                // 00000000271C: 698D8882
	v_and_b32_e32 v201, 3, v198                                // 000000002720: 27938C83
	v_lshlrev_b32_e32 v201, 4, v201                            // 000000002724: 25939284
	v_add_u32_e32 v201, v197, v201                             // 000000002728: 699393C5
	v_lshlrev_b32_e32 v201, 2, v201                            // 00000000272C: 25939282
	v_add_u32_e32 v198, 3, v196                                // 000000002730: 698D8883
	v_and_b32_e32 v202, 3, v198                                // 000000002734: 27958C83
	v_lshlrev_b32_e32 v202, 4, v202                            // 000000002738: 25959484
	v_add_u32_e32 v202, v197, v202                             // 00000000273C: 699595C5
	v_lshlrev_b32_e32 v202, 2, v202                            // 000000002740: 25959482
	s_waitcnt lgkmcnt(0)                                       // 000000002744: BF8CC07F
	s_lshl_b32 s54, s58, 2                                     // 000000002748: 8E36823A
	s_and_b32 s37, s37, 0xffff                                 // 00000000274C: 8625FF25 0000FFFF
	s_load_dwordx2 s[80:81], s[36:37], s54                     // 000000002754: C0041412 00000036
	s_mul_i32 s54, s53, 0x100                                  // 00000000275C: 9236FF35 00000100
	s_mul_i32 s67, s48, s54                                    // 000000002764: 92433630
	s_mul_i32 s66, s48, 4                                      // 000000002768: 92428430
	s_mov_b32 s47, s46                                         // 00000000276C: BEAF002E
	s_mov_b32 s10, 0x80000000                                  // 000000002770: BE8A00FF 80000000
	s_mov_b32 s11, 0x20000                                     // 000000002778: BE8B00FF 00020000
	s_and_b32 s9, s9, 0xffff                                   // 000000002780: 8609FF09 0000FFFF
	s_or_b32 s9, s9, 0                                         // 000000002788: 87098009
	s_mov_b32 s84, s8                                          // 00000000278C: BED40008
	s_mov_b32 s85, s9                                          // 000000002790: BED50009
	s_mov_b32 s6, 0x80000000                                   // 000000002794: BE8600FF 80000000
	s_mov_b32 s7, 0x20000                                      // 00000000279C: BE8700FF 00020000
	s_and_b32 s5, s5, 0xffff                                   // 0000000027A4: 8605FF05 0000FFFF
	s_or_b32 s5, s5, 0                                         // 0000000027AC: 87058005
	s_mov_b32 s82, s4                                          // 0000000027B0: BED20004
	s_mov_b32 s83, s5                                          // 0000000027B4: BED30005
	s_mov_b32 s30, 0x80000000                                  // 0000000027B8: BE9E00FF 80000000
	s_mov_b32 s31, 0x20000                                     // 0000000027C0: BE9F00FF 00020000
	s_and_b32 s29, s29, 0xffff                                 // 0000000027C8: 861DFF1D 0000FFFF
	s_or_b32 s29, s29, 0                                       // 0000000027D0: 871D801D
	s_mov_b32 s94, s28                                         // 0000000027D4: BEDE001C
	s_mov_b32 s95, s29                                         // 0000000027D8: BEDF001D
	s_mov_b32 s34, 0x80000000                                  // 0000000027DC: BEA200FF 80000000
	s_mov_b32 s35, 0x20000                                     // 0000000027E4: BEA300FF 00020000
	s_and_b32 s33, s33, 0xffff                                 // 0000000027EC: 8621FF21 0000FFFF
	s_or_b32 s33, s33, 0                                       // 0000000027F4: 87218021
	s_mov_b32 s96, s32                                         // 0000000027F8: BEE00020
	s_mov_b32 s97, s33                                         // 0000000027FC: BEE10021
	s_mov_b32 s14, 0x80000000                                  // 000000002800: BE8E00FF 80000000
	s_mov_b32 s15, 0x20000                                     // 000000002808: BE8F00FF 00020000
	s_and_b32 s13, s13, 0xffff                                 // 000000002810: 860DFF0D 0000FFFF
	s_or_b32 s13, s13, 0                                       // 000000002818: 870D800D
	s_mul_i32 s55, s57, 0x100                                  // 00000000281C: 9237FF39 00000100
	s_add_u32 s86, s12, s55                                    // 000000002824: 8056370C
	s_addc_u32 s87, s13, 0                                     // 000000002828: 8257800D
	s_mov_b32 s18, 0x80000000                                  // 00000000282C: BE9200FF 80000000
	s_mov_b32 s19, 0x20000                                     // 000000002834: BE9300FF 00020000
	s_and_b32 s17, s17, 0xffff                                 // 00000000283C: 8611FF11 0000FFFF
	s_or_b32 s17, s17, 0                                       // 000000002844: 87118011
	s_add_u32 s88, s16, s55                                    // 000000002848: 80583710
	s_addc_u32 s89, s17, 0                                     // 00000000284C: 82598011
	s_mov_b32 s22, 0x80000000                                  // 000000002850: BE9600FF 80000000
	s_mov_b32 s23, 0x20000                                     // 000000002858: BE9700FF 00020000
	s_and_b32 s21, s21, 0xffff                                 // 000000002860: 8615FF15 0000FFFF
	s_or_b32 s21, s21, 0                                       // 000000002868: 87158015
	s_add_u32 s90, s20, 0                                      // 00000000286C: 805A8014
	s_addc_u32 s91, s21, 0                                     // 000000002870: 825B8015
	s_mov_b32 s26, 0x80000000                                  // 000000002874: BE9A00FF 80000000
	s_mov_b32 s27, 0x20000                                     // 00000000287C: BE9B00FF 00020000
	s_and_b32 s25, s25, 0xffff                                 // 000000002884: 8619FF19 0000FFFF
	s_or_b32 s25, s25, 0                                       // 00000000288C: 87198019
	s_add_u32 s92, s24, 0                                      // 000000002890: 805C8018
	s_addc_u32 s93, s25, 0                                     // 000000002894: 825D8019
	s_and_b32 s39, s39, 0xffff                                 // 000000002898: 8627FF27 0000FFFF
	s_and_b32 s41, s41, 0xffff                                 // 0000000028A0: 8629FF29 0000FFFF
	s_and_b32 s43, s43, 0xffff                                 // 0000000028A8: 862BFF2B 0000FFFF
	s_and_b32 s45, s45, 0xffff                                 // 0000000028B0: 862DFF2D 0000FFFF
	v_and_b32_e32 v188, 15, v0                                 // 0000000028B8: 2778008F
	v_lshlrev_b32_e32 v188, 4, v188                            // 0000000028BC: 25797884
	s_lshl_b32 s54, s57, 2                                     // 0000000028C0: 8E368239
	v_lshrrev_b32_e32 v180, 4, v0                              // 0000000028C4: 21680084
	v_add_u32_e32 v180, s54, v180                              // 0000000028C8: 69696836
	v_add_u32_e32 v181, 16, v180                               // 0000000028CC: 696B6890
	v_add_u32_e32 v182, 16, v181                               // 0000000028D0: 696D6A90
	v_add_u32_e32 v183, 16, v182                               // 0000000028D4: 696F6C90
	v_cvt_f32_u32_e32 v196, s53                                // 0000000028D8: 7F880C35
	v_sub_i32 v184, 0, s53                                     // 0000000028DC: D29D00B8 00006A80
	v_rcp_iflag_f32_e32 v196, v196                             // 0000000028E4: 7F8847C4
	s_nop 0                                                    // 0000000028E8: BF800000
	v_mul_f32_e32 v196, 0x4f7ffffe, v196                       // 0000000028EC: 0B8988FF 4F7FFFFE
	v_cvt_u32_f32_e32 v196, v196                               // 0000000028F4: 7F880FC4
	v_mul_lo_u32 v197, v184, v196                              // 0000000028F8: D28500C5 000389B8
	v_mul_hi_u32 v197, v196, v197                              // 000000002900: D28600C5 00038BC4
	v_add_u32_e32 v196, v196, v197                             // 000000002908: 69898BC4
	v_mul_hi_u32 v196, v180, v196                              // 00000000290C: D28600C4 000389B4
	v_mul_lo_u32 v197, v196, s53                               // 000000002914: D28500C5 00006BC4
	v_sub_u32_e32 v199, v180, v197                             // 00000000291C: 6B8F8BB4
	v_add_u32_e32 v198, 1, v196                                // 000000002920: 698D8881
	v_cmp_le_u32_e32 vcc, s53, v199                            // 000000002924: 7D978E35
	v_subrev_u32_e32 v197, s53, v199                           // 000000002928: 6D8B8E35
	s_nop 0                                                    // 00000000292C: BF800000
	v_cndmask_b32_e32 v196, v196, v198, vcc                    // 000000002930: 01898DC4
	v_cndmask_b32_e32 v199, v199, v197, vcc                    // 000000002934: 018F8BC7
	v_add_u32_e32 v197, 1, v196                                // 000000002938: 698B8881
	v_cmp_le_u32_e32 vcc, s53, v199                            // 00000000293C: 7D978E35
	s_nop 1                                                    // 000000002940: BF800001
	v_cndmask_b32_e32 v184, v196, v197, vcc                    // 000000002944: 01718BC4
	v_mul_i32_i24_e32 v198, s53, v184                          // 000000002948: 0D8D7035
	v_sub_u32_e32 v198, v180, v198                             // 00000000294C: 6B8D8DB4
	v_mul_u32_u24_e32 v198, 0x100, v198                        // 000000002950: 118D8CFF 00000100
	v_mul_u32_u24_e32 v217, s49, v184                          // 000000002958: 11B37031
	v_add3_u32 v217, v198, v217, v188                          // 00000000295C: D1FF00D9 06F3B3C6
	v_mul_u32_u24_e32 v221, s67, v184                          // 000000002964: 11BB7043
	v_add3_u32 v221, v198, v221, v188                          // 000000002968: D1FF00DD 06F3BBC6
	v_cvt_f32_u32_e32 v196, s53                                // 000000002970: 7F880C35
	v_sub_i32 v184, 0, s53                                     // 000000002974: D29D00B8 00006A80
	v_rcp_iflag_f32_e32 v196, v196                             // 00000000297C: 7F8847C4
	s_nop 0                                                    // 000000002980: BF800000
	v_mul_f32_e32 v196, 0x4f7ffffe, v196                       // 000000002984: 0B8988FF 4F7FFFFE
	v_cvt_u32_f32_e32 v196, v196                               // 00000000298C: 7F880FC4
	v_mul_lo_u32 v197, v184, v196                              // 000000002990: D28500C5 000389B8
	v_mul_hi_u32 v197, v196, v197                              // 000000002998: D28600C5 00038BC4
	v_add_u32_e32 v196, v196, v197                             // 0000000029A0: 69898BC4
	v_mul_hi_u32 v196, v181, v196                              // 0000000029A4: D28600C4 000389B5
	v_mul_lo_u32 v197, v196, s53                               // 0000000029AC: D28500C5 00006BC4
	v_sub_u32_e32 v199, v181, v197                             // 0000000029B4: 6B8F8BB5
	v_add_u32_e32 v198, 1, v196                                // 0000000029B8: 698D8881
	v_cmp_le_u32_e32 vcc, s53, v199                            // 0000000029BC: 7D978E35
	v_subrev_u32_e32 v197, s53, v199                           // 0000000029C0: 6D8B8E35
	s_nop 0                                                    // 0000000029C4: BF800000
	v_cndmask_b32_e32 v196, v196, v198, vcc                    // 0000000029C8: 01898DC4
	v_cndmask_b32_e32 v199, v199, v197, vcc                    // 0000000029CC: 018F8BC7
	v_add_u32_e32 v197, 1, v196                                // 0000000029D0: 698B8881
	v_cmp_le_u32_e32 vcc, s53, v199                            // 0000000029D4: 7D978E35
	s_nop 1                                                    // 0000000029D8: BF800001
	v_cndmask_b32_e32 v184, v196, v197, vcc                    // 0000000029DC: 01718BC4
	v_mul_i32_i24_e32 v198, s53, v184                          // 0000000029E0: 0D8D7035
	v_sub_u32_e32 v198, v181, v198                             // 0000000029E4: 6B8D8DB5
	v_mul_u32_u24_e32 v198, 0x100, v198                        // 0000000029E8: 118D8CFF 00000100
	v_mul_u32_u24_e32 v218, s49, v184                          // 0000000029F0: 11B57031
	v_add3_u32 v218, v198, v218, v188                          // 0000000029F4: D1FF00DA 06F3B5C6
	v_mul_u32_u24_e32 v222, s67, v184                          // 0000000029FC: 11BD7043
	v_add3_u32 v222, v198, v222, v188                          // 000000002A00: D1FF00DE 06F3BDC6
	v_cvt_f32_u32_e32 v196, s53                                // 000000002A08: 7F880C35
	v_sub_i32 v184, 0, s53                                     // 000000002A0C: D29D00B8 00006A80
	v_rcp_iflag_f32_e32 v196, v196                             // 000000002A14: 7F8847C4
	s_nop 0                                                    // 000000002A18: BF800000
	v_mul_f32_e32 v196, 0x4f7ffffe, v196                       // 000000002A1C: 0B8988FF 4F7FFFFE
	v_cvt_u32_f32_e32 v196, v196                               // 000000002A24: 7F880FC4
	v_mul_lo_u32 v197, v184, v196                              // 000000002A28: D28500C5 000389B8
	v_mul_hi_u32 v197, v196, v197                              // 000000002A30: D28600C5 00038BC4
	v_add_u32_e32 v196, v196, v197                             // 000000002A38: 69898BC4
	v_mul_hi_u32 v196, v182, v196                              // 000000002A3C: D28600C4 000389B6
	v_mul_lo_u32 v197, v196, s53                               // 000000002A44: D28500C5 00006BC4
	v_sub_u32_e32 v199, v182, v197                             // 000000002A4C: 6B8F8BB6
	v_add_u32_e32 v198, 1, v196                                // 000000002A50: 698D8881
	v_cmp_le_u32_e32 vcc, s53, v199                            // 000000002A54: 7D978E35
	v_subrev_u32_e32 v197, s53, v199                           // 000000002A58: 6D8B8E35
	s_nop 0                                                    // 000000002A5C: BF800000
	v_cndmask_b32_e32 v196, v196, v198, vcc                    // 000000002A60: 01898DC4
	v_cndmask_b32_e32 v199, v199, v197, vcc                    // 000000002A64: 018F8BC7
	v_add_u32_e32 v197, 1, v196                                // 000000002A68: 698B8881
	v_cmp_le_u32_e32 vcc, s53, v199                            // 000000002A6C: 7D978E35
	s_nop 1                                                    // 000000002A70: BF800001
	v_cndmask_b32_e32 v184, v196, v197, vcc                    // 000000002A74: 01718BC4
	v_mul_i32_i24_e32 v198, s53, v184                          // 000000002A78: 0D8D7035
	v_sub_u32_e32 v198, v182, v198                             // 000000002A7C: 6B8D8DB6
	v_mul_u32_u24_e32 v198, 0x100, v198                        // 000000002A80: 118D8CFF 00000100
	v_mul_u32_u24_e32 v219, s49, v184                          // 000000002A88: 11B77031
	v_add3_u32 v219, v198, v219, v188                          // 000000002A8C: D1FF00DB 06F3B7C6
	v_mul_u32_u24_e32 v223, s67, v184                          // 000000002A94: 11BF7043
	v_add3_u32 v223, v198, v223, v188                          // 000000002A98: D1FF00DF 06F3BFC6
	v_cvt_f32_u32_e32 v196, s53                                // 000000002AA0: 7F880C35
	v_sub_i32 v184, 0, s53                                     // 000000002AA4: D29D00B8 00006A80
	v_rcp_iflag_f32_e32 v196, v196                             // 000000002AAC: 7F8847C4
	s_nop 0                                                    // 000000002AB0: BF800000
	v_mul_f32_e32 v196, 0x4f7ffffe, v196                       // 000000002AB4: 0B8988FF 4F7FFFFE
	v_cvt_u32_f32_e32 v196, v196                               // 000000002ABC: 7F880FC4
	v_mul_lo_u32 v197, v184, v196                              // 000000002AC0: D28500C5 000389B8
	v_mul_hi_u32 v197, v196, v197                              // 000000002AC8: D28600C5 00038BC4
	v_add_u32_e32 v196, v196, v197                             // 000000002AD0: 69898BC4
	v_mul_hi_u32 v196, v183, v196                              // 000000002AD4: D28600C4 000389B7
	v_mul_lo_u32 v197, v196, s53                               // 000000002ADC: D28500C5 00006BC4
	v_sub_u32_e32 v199, v183, v197                             // 000000002AE4: 6B8F8BB7
	v_add_u32_e32 v198, 1, v196                                // 000000002AE8: 698D8881
	v_cmp_le_u32_e32 vcc, s53, v199                            // 000000002AEC: 7D978E35
	v_subrev_u32_e32 v197, s53, v199                           // 000000002AF0: 6D8B8E35
	s_nop 0                                                    // 000000002AF4: BF800000
	v_cndmask_b32_e32 v196, v196, v198, vcc                    // 000000002AF8: 01898DC4
	v_cndmask_b32_e32 v199, v199, v197, vcc                    // 000000002AFC: 018F8BC7
	v_add_u32_e32 v197, 1, v196                                // 000000002B00: 698B8881
	v_cmp_le_u32_e32 vcc, s53, v199                            // 000000002B04: 7D978E35
	s_nop 1                                                    // 000000002B08: BF800001
	v_cndmask_b32_e32 v184, v196, v197, vcc                    // 000000002B0C: 01718BC4
	v_mul_i32_i24_e32 v198, s53, v184                          // 000000002B10: 0D8D7035
	v_sub_u32_e32 v198, v183, v198                             // 000000002B14: 6B8D8DB7
	v_mul_u32_u24_e32 v198, 0x100, v198                        // 000000002B18: 118D8CFF 00000100
	v_mul_u32_u24_e32 v220, s49, v184                          // 000000002B20: 11B97031
	v_add3_u32 v220, v198, v220, v188                          // 000000002B24: D1FF00DC 06F3B9C6
	v_mul_u32_u24_e32 v224, s67, v184                          // 000000002B2C: 11C17043
	v_add3_u32 v224, v198, v224, v188                          // 000000002B30: D1FF00E0 06F3C1C6
	s_lshl_b32 s54, s57, 6                                     // 000000002B38: 8E368639
	v_lshrrev_b32_e32 v188, 4, v0                              // 000000002B3C: 21780084
	v_lshlrev_b32_e32 v188, 4, v188                            // 000000002B40: 25797884
	v_add_u32_e32 v188, s54, v188                              // 000000002B44: 69797836
	v_and_b32_e32 v180, 15, v0                                 // 000000002B48: 2768008F
	v_add_u32_e64 v181, v180, 16                               // 000000002B4C: D13400B5 000121B4
	v_add_u32_e64 v182, v180, 32                               // 000000002B54: D13400B6 000141B4
	v_add_u32_e64 v183, v180, 48                               // 000000002B5C: D13400B7 000161B4
	s_mul_i32 s54, s48, s53                                    // 000000002B64: 92363530
	s_lshl_b32 s54, s54, 2                                     // 000000002B68: 8E368236
	s_mul_i32 s55, s54, 0x80                                   // 000000002B6C: 9237FF36 00000080
	v_cvt_f32_u32_e32 v196, s53                                // 000000002B74: 7F880C35
	v_sub_i32 v184, 0, s53                                     // 000000002B78: D29D00B8 00006A80
	v_rcp_iflag_f32_e32 v196, v196                             // 000000002B80: 7F8847C4
	s_nop 0                                                    // 000000002B84: BF800000
	v_mul_f32_e32 v196, 0x4f7ffffe, v196                       // 000000002B88: 0B8988FF 4F7FFFFE
	v_cvt_u32_f32_e32 v196, v196                               // 000000002B90: 7F880FC4
	v_mul_lo_u32 v197, v184, v196                              // 000000002B94: D28500C5 000389B8
	v_mul_hi_u32 v197, v196, v197                              // 000000002B9C: D28600C5 00038BC4
	v_add_u32_e32 v196, v196, v197                             // 000000002BA4: 69898BC4
	v_mul_hi_u32 v196, v180, v196                              // 000000002BA8: D28600C4 000389B4
	v_mul_lo_u32 v197, v196, s53                               // 000000002BB0: D28500C5 00006BC4
	v_sub_u32_e32 v199, v180, v197                             // 000000002BB8: 6B8F8BB4
	v_add_u32_e32 v198, 1, v196                                // 000000002BBC: 698D8881
	v_cmp_le_u32_e32 vcc, s53, v199                            // 000000002BC0: 7D978E35
	v_subrev_u32_e32 v197, s53, v199                           // 000000002BC4: 6D8B8E35
	s_nop 0                                                    // 000000002BC8: BF800000
	v_cndmask_b32_e32 v196, v196, v198, vcc                    // 000000002BCC: 01898DC4
	v_cndmask_b32_e32 v199, v199, v197, vcc                    // 000000002BD0: 018F8BC7
	v_add_u32_e32 v197, 1, v196                                // 000000002BD4: 698B8881
	v_cmp_le_u32_e32 vcc, s53, v199                            // 000000002BD8: 7D978E35
	s_nop 1                                                    // 000000002BDC: BF800001
	v_cndmask_b32_e32 v184, v196, v197, vcc                    // 000000002BE0: 01718BC4
	v_mul_i32_i24_e32 v198, s53, v184                          // 000000002BE4: 0D8D7035
	v_sub_u32_e32 v198, v180, v198                             // 000000002BE8: 6B8D8DB4
	v_lshlrev_b32_e32 v199, 2, v198                            // 000000002BEC: 258F8C82
	v_mul_u32_u24_e32 v233, s54, v184                          // 000000002BF0: 11D37036
	v_add_u32_e32 v233, v199, v233                             // 000000002BF4: 69D3D3C7
	v_mul_u32_u24_e32 v199, 0x200, v198                        // 000000002BF8: 118F8CFF 00000200
	v_mul_u32_u24_e32 v237, s55, v184                          // 000000002C00: 11DB7037
	v_add3_u32 v237, v199, v237, v188                          // 000000002C04: D1FF00ED 06F3DBC7
	v_cvt_f32_u32_e32 v196, s53                                // 000000002C0C: 7F880C35
	v_sub_i32 v184, 0, s53                                     // 000000002C10: D29D00B8 00006A80
	v_rcp_iflag_f32_e32 v196, v196                             // 000000002C18: 7F8847C4
	s_nop 0                                                    // 000000002C1C: BF800000
	v_mul_f32_e32 v196, 0x4f7ffffe, v196                       // 000000002C20: 0B8988FF 4F7FFFFE
	v_cvt_u32_f32_e32 v196, v196                               // 000000002C28: 7F880FC4
	v_mul_lo_u32 v197, v184, v196                              // 000000002C2C: D28500C5 000389B8
	v_mul_hi_u32 v197, v196, v197                              // 000000002C34: D28600C5 00038BC4
	v_add_u32_e32 v196, v196, v197                             // 000000002C3C: 69898BC4
	v_mul_hi_u32 v196, v181, v196                              // 000000002C40: D28600C4 000389B5
	v_mul_lo_u32 v197, v196, s53                               // 000000002C48: D28500C5 00006BC4
	v_sub_u32_e32 v199, v181, v197                             // 000000002C50: 6B8F8BB5
	v_add_u32_e32 v198, 1, v196                                // 000000002C54: 698D8881
	v_cmp_le_u32_e32 vcc, s53, v199                            // 000000002C58: 7D978E35
	v_subrev_u32_e32 v197, s53, v199                           // 000000002C5C: 6D8B8E35
	s_nop 0                                                    // 000000002C60: BF800000
	v_cndmask_b32_e32 v196, v196, v198, vcc                    // 000000002C64: 01898DC4
	v_cndmask_b32_e32 v199, v199, v197, vcc                    // 000000002C68: 018F8BC7
	v_add_u32_e32 v197, 1, v196                                // 000000002C6C: 698B8881
	v_cmp_le_u32_e32 vcc, s53, v199                            // 000000002C70: 7D978E35
	s_nop 1                                                    // 000000002C74: BF800001
	v_cndmask_b32_e32 v184, v196, v197, vcc                    // 000000002C78: 01718BC4
	v_mul_i32_i24_e32 v198, s53, v184                          // 000000002C7C: 0D8D7035
	v_sub_u32_e32 v198, v181, v198                             // 000000002C80: 6B8D8DB5
	v_lshlrev_b32_e32 v199, 2, v198                            // 000000002C84: 258F8C82
	v_mul_u32_u24_e32 v234, s54, v184                          // 000000002C88: 11D57036
	v_add_u32_e32 v234, v199, v234                             // 000000002C8C: 69D5D5C7
	v_mul_u32_u24_e32 v199, 0x200, v198                        // 000000002C90: 118F8CFF 00000200
	v_mul_u32_u24_e32 v238, s55, v184                          // 000000002C98: 11DD7037
	v_add3_u32 v238, v199, v238, v188                          // 000000002C9C: D1FF00EE 06F3DDC7
	v_cvt_f32_u32_e32 v196, s53                                // 000000002CA4: 7F880C35
	v_sub_i32 v184, 0, s53                                     // 000000002CA8: D29D00B8 00006A80
	v_rcp_iflag_f32_e32 v196, v196                             // 000000002CB0: 7F8847C4
	s_nop 0                                                    // 000000002CB4: BF800000
	v_mul_f32_e32 v196, 0x4f7ffffe, v196                       // 000000002CB8: 0B8988FF 4F7FFFFE
	v_cvt_u32_f32_e32 v196, v196                               // 000000002CC0: 7F880FC4
	v_mul_lo_u32 v197, v184, v196                              // 000000002CC4: D28500C5 000389B8
	v_mul_hi_u32 v197, v196, v197                              // 000000002CCC: D28600C5 00038BC4
	v_add_u32_e32 v196, v196, v197                             // 000000002CD4: 69898BC4
	v_mul_hi_u32 v196, v182, v196                              // 000000002CD8: D28600C4 000389B6
	v_mul_lo_u32 v197, v196, s53                               // 000000002CE0: D28500C5 00006BC4
	v_sub_u32_e32 v199, v182, v197                             // 000000002CE8: 6B8F8BB6
	v_add_u32_e32 v198, 1, v196                                // 000000002CEC: 698D8881
	v_cmp_le_u32_e32 vcc, s53, v199                            // 000000002CF0: 7D978E35
	v_subrev_u32_e32 v197, s53, v199                           // 000000002CF4: 6D8B8E35
	s_nop 0                                                    // 000000002CF8: BF800000
	v_cndmask_b32_e32 v196, v196, v198, vcc                    // 000000002CFC: 01898DC4
	v_cndmask_b32_e32 v199, v199, v197, vcc                    // 000000002D00: 018F8BC7
	v_add_u32_e32 v197, 1, v196                                // 000000002D04: 698B8881
	v_cmp_le_u32_e32 vcc, s53, v199                            // 000000002D08: 7D978E35
	s_nop 1                                                    // 000000002D0C: BF800001
	v_cndmask_b32_e32 v184, v196, v197, vcc                    // 000000002D10: 01718BC4
	v_mul_i32_i24_e32 v198, s53, v184                          // 000000002D14: 0D8D7035
	v_sub_u32_e32 v198, v182, v198                             // 000000002D18: 6B8D8DB6
	v_lshlrev_b32_e32 v199, 2, v198                            // 000000002D1C: 258F8C82
	v_mul_u32_u24_e32 v235, s54, v184                          // 000000002D20: 11D77036
	v_add_u32_e32 v235, v199, v235                             // 000000002D24: 69D7D7C7
	v_mul_u32_u24_e32 v199, 0x200, v198                        // 000000002D28: 118F8CFF 00000200
	v_mul_u32_u24_e32 v239, s55, v184                          // 000000002D30: 11DF7037
	v_add3_u32 v239, v199, v239, v188                          // 000000002D34: D1FF00EF 06F3DFC7
	v_cvt_f32_u32_e32 v196, s53                                // 000000002D3C: 7F880C35
	v_sub_i32 v184, 0, s53                                     // 000000002D40: D29D00B8 00006A80
	v_rcp_iflag_f32_e32 v196, v196                             // 000000002D48: 7F8847C4
	s_nop 0                                                    // 000000002D4C: BF800000
	v_mul_f32_e32 v196, 0x4f7ffffe, v196                       // 000000002D50: 0B8988FF 4F7FFFFE
	v_cvt_u32_f32_e32 v196, v196                               // 000000002D58: 7F880FC4
	v_mul_lo_u32 v197, v184, v196                              // 000000002D5C: D28500C5 000389B8
	v_mul_hi_u32 v197, v196, v197                              // 000000002D64: D28600C5 00038BC4
	v_add_u32_e32 v196, v196, v197                             // 000000002D6C: 69898BC4
	v_mul_hi_u32 v196, v183, v196                              // 000000002D70: D28600C4 000389B7
	v_mul_lo_u32 v197, v196, s53                               // 000000002D78: D28500C5 00006BC4
	v_sub_u32_e32 v199, v183, v197                             // 000000002D80: 6B8F8BB7
	v_add_u32_e32 v198, 1, v196                                // 000000002D84: 698D8881
	v_cmp_le_u32_e32 vcc, s53, v199                            // 000000002D88: 7D978E35
	v_subrev_u32_e32 v197, s53, v199                           // 000000002D8C: 6D8B8E35
	s_nop 0                                                    // 000000002D90: BF800000
	v_cndmask_b32_e32 v196, v196, v198, vcc                    // 000000002D94: 01898DC4
	v_cndmask_b32_e32 v199, v199, v197, vcc                    // 000000002D98: 018F8BC7
	v_add_u32_e32 v197, 1, v196                                // 000000002D9C: 698B8881
	v_cmp_le_u32_e32 vcc, s53, v199                            // 000000002DA0: 7D978E35
	s_nop 1                                                    // 000000002DA4: BF800001
	v_cndmask_b32_e32 v184, v196, v197, vcc                    // 000000002DA8: 01718BC4
	v_mul_i32_i24_e32 v198, s53, v184                          // 000000002DAC: 0D8D7035
	v_sub_u32_e32 v198, v183, v198                             // 000000002DB0: 6B8D8DB7
	v_lshlrev_b32_e32 v199, 2, v198                            // 000000002DB4: 258F8C82
	v_mul_u32_u24_e32 v236, s54, v184                          // 000000002DB8: 11D97036
	v_add_u32_e32 v236, v199, v236                             // 000000002DBC: 69D9D9C7
	v_mul_u32_u24_e32 v199, 0x200, v198                        // 000000002DC0: 118F8CFF 00000200
	v_mul_u32_u24_e32 v240, s55, v184                          // 000000002DC8: 11E17037
	v_add3_u32 v240, v199, v240, v188                          // 000000002DCC: D1FF00F0 06F3E1C7
	s_mul_i32 s54, s57, 64                                     // 000000002DD4: 9236C039
	v_and_b32_e32 v196, 15, v0                                 // 000000002DD8: 2788008F
	v_mul_i32_i24_e32 v196, 0x100, v196                        // 000000002DDC: 0D8988FF 00000100
	v_lshrrev_b32_e32 v197, 4, v0                              // 000000002DE4: 218A0084
	v_mul_i32_i24_e32 v197, 16, v197                           // 000000002DE8: 0D8B8A90
	v_add3_u32 v241, v196, v197, s54                           // 000000002DEC: D1FF00F1 00DB8BC4
	v_and_b32_e32 v243, 15, v0                                 // 000000002DF4: 27E6008F
	v_mul_i32_i24_e32 v243, 16, v243                           // 000000002DF8: 0DE7E690
	s_mul_i32 s54, s57, 0x240                                  // 000000002DFC: 9236FF39 00000240
	v_lshrrev_b32_e32 v196, 4, v0                              // 000000002E04: 21880084
	v_lshlrev_b32_e32 v196, 7, v196                            // 000000002E08: 25898887
	v_lshrrev_b32_e32 v197, 5, v0                              // 000000002E0C: 218A0085
	v_lshlrev_b32_e32 v197, 5, v197                            // 000000002E10: 258B8A85
	v_and_b32_e32 v198, 15, v0                                 // 000000002E14: 278C008F
	v_lshlrev_b32_e32 v198, 3, v198                            // 000000002E18: 258D8C83
	v_add3_u32 v196, v196, v197, v198                          // 000000002E1C: D1FF00C4 071B8BC4
	v_add_u32_e32 v242, s54, v196                              // 000000002E24: 69E58836
	v_and_b32_e32 v196, 15, v0                                 // 000000002E28: 2788008F
	v_lshlrev_b32_e32 v197, 7, v196                            // 000000002E2C: 258B8887
	v_lshrrev_b32_e32 v196, 1, v196                            // 000000002E30: 21898881
	v_lshlrev_b32_e32 v196, 5, v196                            // 000000002E34: 25898885
	v_lshrrev_b32_e32 v198, 4, v0                              // 000000002E38: 218C0084
	v_lshlrev_b32_e32 v198, 4, v198                            // 000000002E3C: 258D8C84
	v_add3_u32 v244, v196, v197, v198                          // 000000002E40: D1FF00F4 071B8BC4
	s_mul_i32 s54, s57, 0x240                                  // 000000002E48: 9236FF39 00000240
	v_lshrrev_b32_e32 v196, 5, v0                              // 000000002E50: 21880085
	v_mul_i32_i24_e32 v196, 0x120, v196                        // 000000002E54: 0D8988FF 00000120
	v_lshrrev_b32_e32 v197, 4, v0                              // 000000002E5C: 218A0084
	v_and_b32_e32 v197, 1, v197                                // 000000002E60: 278B8A81
	v_lshlrev_b32_e32 v197, 3, v197                            // 000000002E64: 258B8A83
	v_and_b32_e32 v198, 15, v0                                 // 000000002E68: 278C008F
	v_lshlrev_b32_e32 v198, 4, v198                            // 000000002E6C: 258D8C84
	v_add3_u32 v245, v196, v197, v198                          // 000000002E70: D1FF00F5 071B8BC4
	v_add_u32_e32 v245, s54, v245                              // 000000002E78: 69EBEA36
	s_lshl_b32 s54, s57, 6                                     // 000000002E7C: 8E368639
	v_lshrrev_b32_e32 v196, 4, v0                              // 000000002E80: 21880084
	v_lshlrev_b32_e32 v196, 4, v196                            // 000000002E84: 25898884
	v_and_b32_e32 v197, 15, v0                                 // 000000002E88: 278A008F
	v_mul_i32_i24_e32 v197, 0x120, v197                        // 000000002E8C: 0D8B8AFF 00000120
	v_add3_u32 v246, v196, v197, s54                           // 000000002E94: D1FF00F6 00DB8BC4
	v_lshrrev_b32_e32 v196, 4, v0                              // 000000002E9C: 21880084
	v_and_b32_e32 v197, 15, v0                                 // 000000002EA0: 278A008F
	v_lshlrev_b32_e32 v198, 4, v197                            // 000000002EA4: 258D8A84
	v_mul_i32_i24_e32 v225, 0x1000, v196                       // 000000002EA8: 0DC388FF 00001000
	v_add_u32_e32 v225, v198, v225                             // 000000002EB0: 69C3C3C6
	v_add_u32_e32 v226, 0x4000, v225                           // 000000002EB4: 69C5C2FF 00004000
	v_mul_i32_i24_e32 v227, 0x800, v196                        // 000000002EBC: 0DC788FF 00000800
	v_add_u32_e32 v227, v198, v227                             // 000000002EC4: 69C7C7C6
	v_add_u32_e32 v228, 0x2000, v227                           // 000000002EC8: 69C9C6FF 00002000
	v_add_u32_e32 v229, 0x2000, v228                           // 000000002ED0: 69CBC8FF 00002000
	v_add_u32_e32 v230, 0x2000, v229                           // 000000002ED8: 69CDCAFF 00002000
	v_mov_b32_e32 v231, 0                                      // 000000002EE0: 7FCE0280
	v_mov_b32_e32 v232, 0                                      // 000000002EE4: 7FD00280
	s_lshl_b32 s54, s57, 4                                     // 000000002EE8: 8E368439
	v_lshrrev_b32_e32 v215, 4, v0                              // 000000002EEC: 21AE0084
	v_lshlrev_b32_e32 v215, 2, v215                            // 000000002EF0: 25AFAE82
	v_add_u32_e32 v215, s54, v215                              // 000000002EF4: 69AFAE36
	s_lshl_b32 s54, s57, 6                                     // 000000002EF8: 8E368639
	v_lshrrev_b32_e32 v196, 4, v0                              // 000000002EFC: 21880084
	v_lshlrev_b32_e32 v196, 8, v196                            // 000000002F00: 25898888
	v_and_b32_e32 v197, 15, v0                                 // 000000002F04: 278A008F
	v_lshlrev_b32_e32 v197, 2, v197                            // 000000002F08: 258B8A82
	v_add3_u32 v247, s54, v196, v197                           // 000000002F0C: D1FF00F7 07178836
	v_lshlrev_b32_e32 v247, 2, v247                            // 000000002F14: 25EFEE82
	v_and_b32_e32 v248, 15, v0                                 // 000000002F18: 27F0008F
	v_lshlrev_b32_e32 v248, 4, v248                            // 000000002F1C: 25F1F084
	s_lshl_b32 s54, s57, 8                                     // 000000002F20: 8E368839
	v_and_b32_e32 v197, 15, v0                                 // 000000002F24: 278A008F
	v_lshlrev_b32_e32 v197, 4, v197                            // 000000002F28: 258B8A84
	v_lshrrev_b32_e32 v198, 4, v0                              // 000000002F2C: 218C0084
	v_lshlrev_b32_e32 v198, 2, v198                            // 000000002F30: 258D8C82
	v_add3_u32 v249, v197, v198, s54                           // 000000002F34: D1FF00F9 00DB8DC5
	v_and_b32_e32 v196, 15, v0                                 // 000000002F3C: 2788008F
	v_lshlrev_b32_e32 v196, 4, v196                            // 000000002F40: 25898884
	v_lshrrev_b32_e32 v197, 4, v0                              // 000000002F44: 218A0084
	v_lshlrev_b32_e32 v197, 8, v197                            // 000000002F48: 258B8A88
	v_add_u32_e32 v250, v196, v197                             // 000000002F4C: 69F58BC4
	s_waitcnt lgkmcnt(0)                                       // 000000002F50: BF8CC07F

0000000000002f54 <label_0255>:
	s_cmp_lt_i32 s80, s81                                      // 000000002F54: BF045150
	s_cbranch_scc0 label_2EC5                                  // 000000002F58: BF842C6E
	s_lshl_b32 s54, s80, 5                                     // 000000002F5C: 8E368550
	s_load_dwordx8 s[72:79], s[38:39], s54                     // 000000002F60: C00C1213 00000036
	v_mov_b32_e32 v152, 0xff7fffff                             // 000000002F68: 7F3002FF FF7FFFFF
	v_mov_b64_e32 v[160:161], 0                                // 000000002F70: 7F407080
	v_mov_b64_e32 v[168:169], 0                                // 000000002F74: 7F507080
	v_mov_b64_e32 v[144:145], 0                                // 000000002F78: 7F207080
	v_mov_b32_e32 v153, 0xff7fffff                             // 000000002F7C: 7F3202FF FF7FFFFF
	v_mov_b64_e32 v[162:163], 0                                // 000000002F84: 7F447080
	v_mov_b64_e32 v[170:171], 0                                // 000000002F88: 7F547080
	v_mov_b64_e32 v[146:147], 0                                // 000000002F8C: 7F247080
	v_mov_b32_e32 v154, 0xff7fffff                             // 000000002F90: 7F3402FF FF7FFFFF
	v_mov_b64_e32 v[164:165], 0                                // 000000002F98: 7F487080
	v_mov_b64_e32 v[172:173], 0                                // 000000002F9C: 7F587080
	v_mov_b64_e32 v[148:149], 0                                // 000000002FA0: 7F287080
	v_mov_b32_e32 v155, 0xff7fffff                             // 000000002FA4: 7F3602FF FF7FFFFF
	v_mov_b64_e32 v[166:167], 0                                // 000000002FAC: 7F4C7080
	v_mov_b64_e32 v[174:175], 0                                // 000000002FB0: 7F5C7080
	v_mov_b64_e32 v[150:151], 0                                // 000000002FB4: 7F2C7080
	v_mov_b32_e32 v100, 0                                      // 000000002FB8: 7EC80280
	v_mov_b32_e32 v68, 0                                       // 000000002FBC: 7E880280
	v_mov_b32_e32 v101, 0                                      // 000000002FC0: 7ECA0280
	v_mov_b32_e32 v69, 0                                       // 000000002FC4: 7E8A0280
	v_mov_b32_e32 v102, 0                                      // 000000002FC8: 7ECC0280
	v_mov_b32_e32 v70, 0                                       // 000000002FCC: 7E8C0280
	v_mov_b32_e32 v103, 0                                      // 000000002FD0: 7ECE0280
	v_mov_b32_e32 v71, 0                                       // 000000002FD4: 7E8E0280
	v_mov_b32_e32 v104, 0                                      // 000000002FD8: 7ED00280
	v_mov_b32_e32 v72, 0                                       // 000000002FDC: 7E900280
	v_mov_b32_e32 v105, 0                                      // 000000002FE0: 7ED20280
	v_mov_b32_e32 v73, 0                                       // 000000002FE4: 7E920280
	v_mov_b32_e32 v106, 0                                      // 000000002FE8: 7ED40280
	v_mov_b32_e32 v74, 0                                       // 000000002FEC: 7E940280
	v_mov_b32_e32 v107, 0                                      // 000000002FF0: 7ED60280
	v_mov_b32_e32 v75, 0                                       // 000000002FF4: 7E960280
	v_mov_b32_e32 v108, 0                                      // 000000002FF8: 7ED80280
	v_mov_b32_e32 v76, 0                                       // 000000002FFC: 7E980280
	v_mov_b32_e32 v109, 0                                      // 000000003000: 7EDA0280
	v_mov_b32_e32 v77, 0                                       // 000000003004: 7E9A0280
	v_mov_b32_e32 v110, 0                                      // 000000003008: 7EDC0280
	v_mov_b32_e32 v78, 0                                       // 00000000300C: 7E9C0280
	v_mov_b32_e32 v111, 0                                      // 000000003010: 7EDE0280
	v_mov_b32_e32 v79, 0                                       // 000000003014: 7E9E0280
	v_mov_b32_e32 v112, 0                                      // 000000003018: 7EE00280
	v_mov_b32_e32 v80, 0                                       // 00000000301C: 7EA00280
	v_mov_b32_e32 v113, 0                                      // 000000003020: 7EE20280
	v_mov_b32_e32 v81, 0                                       // 000000003024: 7EA20280
	v_mov_b32_e32 v114, 0                                      // 000000003028: 7EE40280
	v_mov_b32_e32 v82, 0                                       // 00000000302C: 7EA40280
	v_mov_b32_e32 v115, 0                                      // 000000003030: 7EE60280
	v_mov_b32_e32 v83, 0                                       // 000000003034: 7EA60280
	v_mov_b32_e32 v116, 0                                      // 000000003038: 7EE80280
	v_mov_b32_e32 v84, 0                                       // 00000000303C: 7EA80280
	v_mov_b32_e32 v117, 0                                      // 000000003040: 7EEA0280
	v_mov_b32_e32 v85, 0                                       // 000000003044: 7EAA0280
	v_mov_b32_e32 v118, 0                                      // 000000003048: 7EEC0280
	v_mov_b32_e32 v86, 0                                       // 00000000304C: 7EAC0280
	v_mov_b32_e32 v119, 0                                      // 000000003050: 7EEE0280
	v_mov_b32_e32 v87, 0                                       // 000000003054: 7EAE0280
	v_mov_b32_e32 v120, 0                                      // 000000003058: 7EF00280
	v_mov_b32_e32 v88, 0                                       // 00000000305C: 7EB00280
	v_mov_b32_e32 v121, 0                                      // 000000003060: 7EF20280
	v_mov_b32_e32 v89, 0                                       // 000000003064: 7EB20280
	v_mov_b32_e32 v122, 0                                      // 000000003068: 7EF40280
	v_mov_b32_e32 v90, 0                                       // 00000000306C: 7EB40280
	v_mov_b32_e32 v123, 0                                      // 000000003070: 7EF60280
	v_mov_b32_e32 v91, 0                                       // 000000003074: 7EB60280
	v_mov_b32_e32 v124, 0                                      // 000000003078: 7EF80280
	v_mov_b32_e32 v92, 0                                       // 00000000307C: 7EB80280
	v_mov_b32_e32 v125, 0                                      // 000000003080: 7EFA0280
	v_mov_b32_e32 v93, 0                                       // 000000003084: 7EBA0280
	v_mov_b32_e32 v126, 0                                      // 000000003088: 7EFC0280
	v_mov_b32_e32 v94, 0                                       // 00000000308C: 7EBC0280
	v_mov_b32_e32 v127, 0                                      // 000000003090: 7EFE0280
	v_mov_b32_e32 v95, 0                                       // 000000003094: 7EBE0280
	v_mov_b32_e32 v128, 0                                      // 000000003098: 7F000280
	v_mov_b32_e32 v96, 0                                       // 00000000309C: 7EC00280
	v_mov_b32_e32 v129, 0                                      // 0000000030A0: 7F020280
	v_mov_b32_e32 v97, 0                                       // 0000000030A4: 7EC20280
	v_mov_b32_e32 v130, 0                                      // 0000000030A8: 7F040280
	v_mov_b32_e32 v98, 0                                       // 0000000030AC: 7EC40280
	v_mov_b32_e32 v131, 0                                      // 0000000030B0: 7F060280
	v_mov_b32_e32 v99, 0                                       // 0000000030B4: 7EC60280
	s_waitcnt lgkmcnt(0)                                       // 0000000030B8: BF8CC07F
	s_mul_i32 s64, s76, 0x100                                  // 0000000030BC: 9240FF4C 00000100
	s_lshl_b32 s54, s72, 2                                     // 0000000030C4: 8E368248
	s_load_dword s60, s[44:45], s54                            // 0000000030C8: C0000F16 00000036
	s_load_dword s61, s[40:41], s54                            // 0000000030D0: C0000F54 00000036
	s_lshl_b32 s68, s76, 2                                     // 0000000030D8: 8E44824C
	s_cmp_lt_u32 s76, s77                                      // 0000000030DC: BF0A4D4C
	s_cselect_b32 s68, s68, 0                                  // 0000000030E0: 85448044
	s_addk_i32 s76, 0x1                                        // 0000000030E4: B74C0001
	s_load_dword s59, s[42:43], s68                            // 0000000030E8: C0000ED5 00000044
	s_and_b32 s79, s79, 0xffff                                 // 0000000030F0: 864FFF4F 0000FFFF
	v_cvt_f32_u32_e32 v196, s53                                // 0000000030F8: 7F880C35
	s_sub_i32 s78, 0, s53                                      // 0000000030FC: 81CE3580
	v_rcp_iflag_f32_e32 v196, v196                             // 000000003100: 7F8847C4
	s_nop 0                                                    // 000000003104: BF800000
	v_mul_f32_e32 v196, 0x4f7ffffe, v196                       // 000000003108: 0B8988FF 4F7FFFFE
	v_cvt_u32_f32_e32 v196, v196                               // 000000003110: 7F880FC4
	v_mul_lo_u32 v197, s78, v196                               // 000000003114: D28500C5 0003884E
	v_mul_hi_u32 v197, v196, v197                              // 00000000311C: D28600C5 00038BC4
	v_add_u32_e32 v196, v196, v197                             // 000000003124: 69898BC4
	v_mul_hi_u32 v196, s79, v196                               // 000000003128: D28600C4 0003884F
	v_mul_lo_u32 v197, v196, s53                               // 000000003130: D28500C5 00006BC4
	v_sub_u32_e32 v199, s79, v197                              // 000000003138: 6B8F8A4F
	v_add_u32_e32 v198, 1, v196                                // 00000000313C: 698D8881
	v_cmp_le_u32_e32 vcc, s53, v199                            // 000000003140: 7D978E35
	v_subrev_u32_e32 v197, s53, v199                           // 000000003144: 6D8B8E35
	s_nop 0                                                    // 000000003148: BF800000
	v_cndmask_b32_e32 v196, v196, v198, vcc                    // 00000000314C: 01898DC4
	v_cndmask_b32_e32 v199, v199, v197, vcc                    // 000000003150: 018F8BC7
	v_add_u32_e32 v197, 1, v196                                // 000000003154: 698B8881
	v_cmp_le_u32_e32 vcc, s53, v199                            // 000000003158: 7D978E35
	s_nop 1                                                    // 00000000315C: BF800001
	v_cndmask_b32_e32 v199, v196, v197, vcc                    // 000000003160: 018F8BC4
	s_nop 3                                                    // 000000003164: BF800003
	v_readfirstlane_b32 s78, v199                              // 000000003168: 7E9C05C7
	s_nop 3                                                    // 00000000316C: BF800003
	s_mul_i32 s65, s53, 0x100                                  // 000000003170: 9241FF35 00000100
	s_add_u32 s54, s52, 1                                      // 000000003178: 80368134
	s_mul_i32 s54, s49, s54                                    // 00000000317C: 92363631
	s_mul_i32 s54, s72, s54                                    // 000000003180: 92363648
	s_mul_i32 s55, s78, s65                                    // 000000003184: 9237414E
	s_add_u32 s54, s54, s55                                    // 000000003188: 80363736
	s_add_u32 s8, s84, s54                                     // 00000000318C: 80083654
	s_addc_u32 s9, s85, 0                                      // 000000003190: 82098055
	s_mul_i32 s54, s52, s49                                    // 000000003194: 92363134
	s_add_u32 s10, s54, s65                                    // 000000003198: 800A4136
	s_add_u32 s54, s52, 1                                      // 00000000319C: 80368134
	s_mul_i32 s54, s54, s67                                    // 0000000031A0: 92364336
	s_mul_i32 s54, s54, s72                                    // 0000000031A4: 92364836
	s_mul_i32 s55, s78, s65                                    // 0000000031A8: 9237414E
	s_add_u32 s54, s54, s55                                    // 0000000031AC: 80363736
	s_add_u32 s4, s82, s54                                     // 0000000031B0: 80043652
	s_addc_u32 s5, s83, 0                                      // 0000000031B4: 82058053
	s_mul_i32 s54, s52, s67                                    // 0000000031B8: 92364334
	s_add_u32 s6, s54, s65                                     // 0000000031BC: 80064136
	s_mul_i32 s55, s53, 0x200                                  // 0000000031C0: 9237FF35 00000200
	s_mul_i32 s54, s73, s48                                    // 0000000031C8: 92363049
	s_add_u32 s54, s54, s78                                    // 0000000031CC: 80364E36
	s_mul_i32 s54, s54, s55                                    // 0000000031D0: 92363736
	s_add_u32 s28, s94, s54                                    // 0000000031D4: 801C365E
	s_addc_u32 s29, s95, 0                                     // 0000000031D8: 821D805F
	s_add_u32 s54, s52, 1                                      // 0000000031DC: 80368134
	s_mul_i32 s54, s54, s48                                    // 0000000031E0: 92363036
	s_mul_i32 s30, s54, s55                                    // 0000000031E4: 921E3736
	s_mul_i32 s55, s53, 4                                      // 0000000031E8: 92378435
	s_mul_i32 s54, s73, s48                                    // 0000000031EC: 92363049
	s_add_u32 s54, s54, s78                                    // 0000000031F0: 80364E36
	s_mul_i32 s54, s54, s55                                    // 0000000031F4: 92363736
	s_add_u32 s32, s96, s54                                    // 0000000031F8: 80203660
	s_addc_u32 s33, s97, 0                                     // 0000000031FC: 82218061
	s_add_u32 s54, s52, 1                                      // 000000003200: 80368134
	s_mul_i32 s54, s54, s48                                    // 000000003204: 92363036
	s_mul_i32 s34, s54, s55                                    // 000000003208: 92223736
	buffer_load_dwordx4 v[4:7], v217, s[8:11], 0 offen         // 00000000320C: E05C1000 800204D9
	buffer_load_dwordx4 v[8:11], v218, s[8:11], 0 offen        // 000000003214: E05C1000 800208DA
	buffer_load_dwordx4 v[12:15], v219, s[8:11], 0 offen       // 00000000321C: E05C1000 80020CDB
	buffer_load_dwordx4 v[16:19], v220, s[8:11], 0 offen       // 000000003224: E05C1000 800210DC
	s_waitcnt lgkmcnt(0)                                       // 00000000322C: BF8CC07F
	s_mul_i32 s54, s60, 0x100                                  // 000000003230: 9236FF3C 00000100
	s_sub_i32 s64, s64, s54                                    // 000000003238: 81C03640
	s_mul_i32 s69, s59, s50                                    // 00000000323C: 9245323B
	s_mul_i32 s71, s59, s66                                    // 000000003240: 9247423B
	s_mul_i32 s54, s78, s51                                    // 000000003244: 9236334E
	s_add_u32 s69, s69, s54                                    // 000000003248: 80453645
	s_mov_b32 s70, s69                                         // 00000000324C: BEC60045
	s_mul_i32 s54, s78, 4                                      // 000000003250: 9236844E
	s_add_u32 s71, s71, s54                                    // 000000003254: 80473647
	s_add_u32 s12, s86, s69                                    // 000000003258: 800C4556
	s_addc_u32 s13, s87, 0                                     // 00000000325C: 820D8057
	s_add_u32 s16, s88, s70                                    // 000000003260: 80104658
	s_addc_u32 s17, s89, 0                                     // 000000003264: 82118059
	s_add_u32 s20, s90, s71                                    // 000000003268: 8014475A
	s_addc_u32 s21, s91, 0                                     // 00000000326C: 8215805B
	s_add_u32 s24, s92, s71                                    // 000000003270: 8018475C
	s_addc_u32 s25, s93, 0                                     // 000000003274: 8219805D
	buffer_load_dwordx4 a[32:35], v225, s[12:15], 0 offen      // 000000003278: E05C1000 808320E1
	buffer_load_dwordx4 a[36:39], v226, s[12:15], 0 offen      // 000000003280: E05C1000 808324E2
	buffer_load_dwordx4 a[40:43], v225, s[12:15], 0 offen offset:1024// 000000003288: E05C1400 808328E1
	buffer_load_dwordx4 a[44:47], v226, s[12:15], 0 offen offset:1024// 000000003290: E05C1400 80832CE2
	buffer_load_dwordx4 a[48:51], v225, s[12:15], 0 offen offset:2048// 000000003298: E05C1800 808330E1
	buffer_load_dwordx4 a[52:55], v226, s[12:15], 0 offen offset:2048// 0000000032A0: E05C1800 808334E2
	buffer_load_dwordx4 a[56:59], v225, s[12:15], 0 offen offset:3072// 0000000032A8: E05C1C00 808338E1
	buffer_load_dwordx4 a[60:63], v226, s[12:15], 0 offen offset:3072// 0000000032B0: E05C1C00 80833CE2
	buffer_load_dword v140, v231, s[20:23], 0 offen            // 0000000032B8: E0501000 80058CE7
	buffer_load_dword v142, v232, s[24:27], 0 offen            // 0000000032C0: E0501000 80068EE8
	buffer_load_dwordx4 a[96:99], v227, s[16:19], 0 offen      // 0000000032C8: E05C1000 808460E3
	buffer_load_dwordx4 a[100:103], v228, s[16:19], 0 offen    // 0000000032D0: E05C1000 808464E4
	buffer_load_dwordx4 a[104:107], v229, s[16:19], 0 offen    // 0000000032D8: E05C1000 808468E5
	buffer_load_dwordx4 a[108:111], v230, s[16:19], 0 offen    // 0000000032E0: E05C1000 80846CE6
	buffer_load_dwordx4 a[112:115], v227, s[16:19], 0 offen offset:1024// 0000000032E8: E05C1400 808470E3
	buffer_load_dwordx4 a[116:119], v228, s[16:19], 0 offen offset:1024// 0000000032F0: E05C1400 808474E4
	buffer_load_dwordx4 a[120:123], v229, s[16:19], 0 offen offset:1024// 0000000032F8: E05C1400 808478E5
	buffer_load_dwordx4 a[124:127], v230, s[16:19], 0 offen offset:1024// 000000003300: E05C1400 80847CE6
	s_sub_i32 s54, s77, s60                                    // 000000003308: 81B63C4D
	s_mul_i32 s62, s54, 0x100                                  // 00000000330C: 923EFF36 00000100
	s_cmp_lt_i32 s62, s61                                      // 000000003314: BF043D3E
	s_cselect_b32 s62, s62, s61                                // 000000003318: 853E3D3E
	s_sub_i32 s54, s61, s52                                    // 00000000331C: 81B6343D
	v_and_b32_e32 v180, 15, v0                                 // 000000003320: 2768008F
	v_add_u32_e32 v181, 16, v180                               // 000000003324: 696B6890
	v_add_u32_e32 v182, 16, v181                               // 000000003328: 696D6A90
	v_add_u32_e32 v183, 16, v182                               // 00000000332C: 696F6C90
	s_cmp_lt_i32 s62, s54                                      // 000000003330: BF04363E
	s_cselect_b32 s63, s62, s54                                // 000000003334: 853F363E
	s_and_b32 s63, s63, 0xffffff00                             // 000000003338: 863FFF3F FFFFFF00
	v_cvt_f32_u32_e32 v196, s53                                // 000000003340: 7F880C35
	v_sub_i32 v184, 0, s53                                     // 000000003344: D29D00B8 00006A80
	v_rcp_iflag_f32_e32 v196, v196                             // 00000000334C: 7F8847C4
	s_nop 0                                                    // 000000003350: BF800000
	v_mul_f32_e32 v196, 0x4f7ffffe, v196                       // 000000003354: 0B8988FF 4F7FFFFE
	v_cvt_u32_f32_e32 v196, v196                               // 00000000335C: 7F880FC4
	v_mul_lo_u32 v197, v184, v196                              // 000000003360: D28500C5 000389B8
	v_mul_hi_u32 v197, v196, v197                              // 000000003368: D28600C5 00038BC4
	v_add_u32_e32 v196, v196, v197                             // 000000003370: 69898BC4
	v_mul_hi_u32 v196, v180, v196                              // 000000003374: D28600C4 000389B4
	v_mul_lo_u32 v197, v196, s53                               // 00000000337C: D28500C5 00006BC4
	v_sub_u32_e32 v199, v180, v197                             // 000000003384: 6B8F8BB4
	v_add_u32_e32 v198, 1, v196                                // 000000003388: 698D8881
	v_cmp_le_u32_e32 vcc, s53, v199                            // 00000000338C: 7D978E35
	v_subrev_u32_e32 v197, s53, v199                           // 000000003390: 6D8B8E35
	s_nop 0                                                    // 000000003394: BF800000
	v_cndmask_b32_e32 v196, v196, v198, vcc                    // 000000003398: 01898DC4
	v_cndmask_b32_e32 v199, v199, v197, vcc                    // 00000000339C: 018F8BC7
	v_add_u32_e32 v197, 1, v196                                // 0000000033A0: 698B8881
	v_cmp_le_u32_e32 vcc, s53, v199                            // 0000000033A4: 7D978E35
	s_nop 1                                                    // 0000000033A8: BF800001
	v_cndmask_b32_e32 v184, v196, v197, vcc                    // 0000000033AC: 01718BC4
	v_add_u32_e32 v211, s54, v184                              // 0000000033B0: 69A77036
	v_cmp_lt_u32_e32 vcc, s62, v211                            // 0000000033B4: 7D93A63E
	v_mov_b32_e32 v197, s62                                    // 0000000033B8: 7F8A023E
	v_cndmask_b32_e32 v211, v211, v197, vcc                    // 0000000033BC: 01A78BD3
	v_cvt_f32_u32_e32 v196, s53                                // 0000000033C0: 7F880C35
	v_sub_i32 v184, 0, s53                                     // 0000000033C4: D29D00B8 00006A80
	v_rcp_iflag_f32_e32 v196, v196                             // 0000000033CC: 7F8847C4
	s_nop 0                                                    // 0000000033D0: BF800000
	v_mul_f32_e32 v196, 0x4f7ffffe, v196                       // 0000000033D4: 0B8988FF 4F7FFFFE
	v_cvt_u32_f32_e32 v196, v196                               // 0000000033DC: 7F880FC4
	v_mul_lo_u32 v197, v184, v196                              // 0000000033E0: D28500C5 000389B8
	v_mul_hi_u32 v197, v196, v197                              // 0000000033E8: D28600C5 00038BC4
	v_add_u32_e32 v196, v196, v197                             // 0000000033F0: 69898BC4
	v_mul_hi_u32 v196, v181, v196                              // 0000000033F4: D28600C4 000389B5
	v_mul_lo_u32 v197, v196, s53                               // 0000000033FC: D28500C5 00006BC4
	v_sub_u32_e32 v199, v181, v197                             // 000000003404: 6B8F8BB5
	v_add_u32_e32 v198, 1, v196                                // 000000003408: 698D8881
	v_cmp_le_u32_e32 vcc, s53, v199                            // 00000000340C: 7D978E35
	v_subrev_u32_e32 v197, s53, v199                           // 000000003410: 6D8B8E35
	s_nop 0                                                    // 000000003414: BF800000
	v_cndmask_b32_e32 v196, v196, v198, vcc                    // 000000003418: 01898DC4
	v_cndmask_b32_e32 v199, v199, v197, vcc                    // 00000000341C: 018F8BC7
	v_add_u32_e32 v197, 1, v196                                // 000000003420: 698B8881
	v_cmp_le_u32_e32 vcc, s53, v199                            // 000000003424: 7D978E35
	s_nop 1                                                    // 000000003428: BF800001
	v_cndmask_b32_e32 v184, v196, v197, vcc                    // 00000000342C: 01718BC4
	v_add_u32_e32 v212, s54, v184                              // 000000003430: 69A97036
	v_cmp_lt_u32_e32 vcc, s62, v212                            // 000000003434: 7D93A83E
	v_mov_b32_e32 v197, s62                                    // 000000003438: 7F8A023E
	v_cndmask_b32_e32 v212, v212, v197, vcc                    // 00000000343C: 01A98BD4
	v_cvt_f32_u32_e32 v196, s53                                // 000000003440: 7F880C35
	v_sub_i32 v184, 0, s53                                     // 000000003444: D29D00B8 00006A80
	v_rcp_iflag_f32_e32 v196, v196                             // 00000000344C: 7F8847C4
	s_nop 0                                                    // 000000003450: BF800000
	v_mul_f32_e32 v196, 0x4f7ffffe, v196                       // 000000003454: 0B8988FF 4F7FFFFE
	v_cvt_u32_f32_e32 v196, v196                               // 00000000345C: 7F880FC4
	v_mul_lo_u32 v197, v184, v196                              // 000000003460: D28500C5 000389B8
	v_mul_hi_u32 v197, v196, v197                              // 000000003468: D28600C5 00038BC4
	v_add_u32_e32 v196, v196, v197                             // 000000003470: 69898BC4
	v_mul_hi_u32 v196, v182, v196                              // 000000003474: D28600C4 000389B6
	v_mul_lo_u32 v197, v196, s53                               // 00000000347C: D28500C5 00006BC4
	v_sub_u32_e32 v199, v182, v197                             // 000000003484: 6B8F8BB6
	v_add_u32_e32 v198, 1, v196                                // 000000003488: 698D8881
	v_cmp_le_u32_e32 vcc, s53, v199                            // 00000000348C: 7D978E35
	v_subrev_u32_e32 v197, s53, v199                           // 000000003490: 6D8B8E35
	s_nop 0                                                    // 000000003494: BF800000
	v_cndmask_b32_e32 v196, v196, v198, vcc                    // 000000003498: 01898DC4
	v_cndmask_b32_e32 v199, v199, v197, vcc                    // 00000000349C: 018F8BC7
	v_add_u32_e32 v197, 1, v196                                // 0000000034A0: 698B8881
	v_cmp_le_u32_e32 vcc, s53, v199                            // 0000000034A4: 7D978E35
	s_nop 1                                                    // 0000000034A8: BF800001
	v_cndmask_b32_e32 v184, v196, v197, vcc                    // 0000000034AC: 01718BC4
	v_add_u32_e32 v213, s54, v184                              // 0000000034B0: 69AB7036
	v_cmp_lt_u32_e32 vcc, s62, v213                            // 0000000034B4: 7D93AA3E
	v_mov_b32_e32 v197, s62                                    // 0000000034B8: 7F8A023E
	v_cndmask_b32_e32 v213, v213, v197, vcc                    // 0000000034BC: 01AB8BD5
	v_cvt_f32_u32_e32 v196, s53                                // 0000000034C0: 7F880C35
	v_sub_i32 v184, 0, s53                                     // 0000000034C4: D29D00B8 00006A80
	v_rcp_iflag_f32_e32 v196, v196                             // 0000000034CC: 7F8847C4
	s_nop 0                                                    // 0000000034D0: BF800000
	v_mul_f32_e32 v196, 0x4f7ffffe, v196                       // 0000000034D4: 0B8988FF 4F7FFFFE
	v_cvt_u32_f32_e32 v196, v196                               // 0000000034DC: 7F880FC4
	v_mul_lo_u32 v197, v184, v196                              // 0000000034E0: D28500C5 000389B8
	v_mul_hi_u32 v197, v196, v197                              // 0000000034E8: D28600C5 00038BC4
	v_add_u32_e32 v196, v196, v197                             // 0000000034F0: 69898BC4
	v_mul_hi_u32 v196, v183, v196                              // 0000000034F4: D28600C4 000389B7
	v_mul_lo_u32 v197, v196, s53                               // 0000000034FC: D28500C5 00006BC4
	v_sub_u32_e32 v199, v183, v197                             // 000000003504: 6B8F8BB7
	v_add_u32_e32 v198, 1, v196                                // 000000003508: 698D8881
	v_cmp_le_u32_e32 vcc, s53, v199                            // 00000000350C: 7D978E35
	v_subrev_u32_e32 v197, s53, v199                           // 000000003510: 6D8B8E35
	s_nop 0                                                    // 000000003514: BF800000
	v_cndmask_b32_e32 v196, v196, v198, vcc                    // 000000003518: 01898DC4
	v_cndmask_b32_e32 v199, v199, v197, vcc                    // 00000000351C: 018F8BC7
	v_add_u32_e32 v197, 1, v196                                // 000000003520: 698B8881
	v_cmp_le_u32_e32 vcc, s53, v199                            // 000000003524: 7D978E35
	s_nop 1                                                    // 000000003528: BF800001
	v_cndmask_b32_e32 v184, v196, v197, vcc                    // 00000000352C: 01718BC4
	v_add_u32_e32 v214, s54, v184                              // 000000003530: 69AD7036
	v_cmp_lt_u32_e32 vcc, s62, v214                            // 000000003534: 7D93AC3E
	v_mov_b32_e32 v197, s62                                    // 000000003538: 7F8A023E
	v_cndmask_b32_e32 v214, v214, v197, vcc                    // 00000000353C: 01AD8BD6
	s_waitcnt vmcnt(18)                                        // 000000003540: BF8C4F72
	v_lshlrev_b32_e32 v20, 16, v4                              // 000000003544: 24280890
	v_and_b32_e32 v21, 0xffff0000, v4                          // 000000003548: 262A08FF FFFF0000
	v_lshlrev_b32_e32 v22, 16, v5                              // 000000003550: 242C0A90
	v_and_b32_e32 v23, 0xffff0000, v5                          // 000000003554: 262E0AFF FFFF0000
	v_lshlrev_b32_e32 v24, 16, v6                              // 00000000355C: 24300C90
	v_and_b32_e32 v25, 0xffff0000, v6                          // 000000003560: 26320CFF FFFF0000
	v_lshlrev_b32_e32 v26, 16, v7                              // 000000003568: 24340E90
	v_and_b32_e32 v27, 0xffff0000, v7                          // 00000000356C: 26360EFF FFFF0000
	v_lshlrev_b32_e32 v28, 16, v8                              // 000000003574: 24381090
	v_and_b32_e32 v29, 0xffff0000, v8                          // 000000003578: 263A10FF FFFF0000
	v_lshlrev_b32_e32 v30, 16, v9                              // 000000003580: 243C1290
	v_and_b32_e32 v31, 0xffff0000, v9                          // 000000003584: 263E12FF FFFF0000
	v_lshlrev_b32_e32 v32, 16, v10                             // 00000000358C: 24401490
	v_and_b32_e32 v33, 0xffff0000, v10                         // 000000003590: 264214FF FFFF0000
	v_lshlrev_b32_e32 v34, 16, v11                             // 000000003598: 24441690
	v_and_b32_e32 v35, 0xffff0000, v11                         // 00000000359C: 264616FF FFFF0000
	v_lshlrev_b32_e32 v36, 16, v12                             // 0000000035A4: 24481890
	v_and_b32_e32 v37, 0xffff0000, v12                         // 0000000035A8: 264A18FF FFFF0000
	v_lshlrev_b32_e32 v38, 16, v13                             // 0000000035B0: 244C1A90
	v_and_b32_e32 v39, 0xffff0000, v13                         // 0000000035B4: 264E1AFF FFFF0000
	v_lshlrev_b32_e32 v40, 16, v14                             // 0000000035BC: 24501C90
	v_and_b32_e32 v41, 0xffff0000, v14                         // 0000000035C0: 26521CFF FFFF0000
	v_lshlrev_b32_e32 v42, 16, v15                             // 0000000035C8: 24541E90
	v_and_b32_e32 v43, 0xffff0000, v15                         // 0000000035CC: 26561EFF FFFF0000
	v_lshlrev_b32_e32 v44, 16, v16                             // 0000000035D4: 24582090
	v_and_b32_e32 v45, 0xffff0000, v16                         // 0000000035D8: 265A20FF FFFF0000
	v_lshlrev_b32_e32 v46, 16, v17                             // 0000000035E0: 245C2290
	v_and_b32_e32 v47, 0xffff0000, v17                         // 0000000035E4: 265E22FF FFFF0000
	v_lshlrev_b32_e32 v48, 16, v18                             // 0000000035EC: 24602490
	v_and_b32_e32 v49, 0xffff0000, v18                         // 0000000035F0: 266224FF FFFF0000
	v_lshlrev_b32_e32 v50, 16, v19                             // 0000000035F8: 24642690
	v_and_b32_e32 v51, 0xffff0000, v19                         // 0000000035FC: 266626FF FFFF0000
	v_mov_b32_e32 v176, 0x358637bd                             // 000000003604: 7F6002FF 358637BD
	v_max3_f32 v176, |v20|, |v21|, v176                        // 00000000360C: D1D303B0 06C22B14
	v_max3_f32 v176, |v22|, |v23|, v176                        // 000000003614: D1D303B0 06C22F16
	v_max3_f32 v176, |v24|, |v25|, v176                        // 00000000361C: D1D303B0 06C23318
	v_max3_f32 v176, |v26|, |v27|, v176                        // 000000003624: D1D303B0 06C2371A
	v_mov_b32_e32 v177, 0x358637bd                             // 00000000362C: 7F6202FF 358637BD
	v_max3_f32 v177, |v28|, |v29|, v177                        // 000000003634: D1D303B1 06C63B1C
	v_max3_f32 v177, |v30|, |v31|, v177                        // 00000000363C: D1D303B1 06C63F1E
	v_max3_f32 v177, |v32|, |v33|, v177                        // 000000003644: D1D303B1 06C64320
	v_max3_f32 v177, |v34|, |v35|, v177                        // 00000000364C: D1D303B1 06C64722
	v_mov_b32_e32 v178, 0x358637bd                             // 000000003654: 7F6402FF 358637BD
	v_max3_f32 v178, |v36|, |v37|, v178                        // 00000000365C: D1D303B2 06CA4B24
	v_max3_f32 v178, |v38|, |v39|, v178                        // 000000003664: D1D303B2 06CA4F26
	v_max3_f32 v178, |v40|, |v41|, v178                        // 00000000366C: D1D303B2 06CA5328
	v_max3_f32 v178, |v42|, |v43|, v178                        // 000000003674: D1D303B2 06CA572A
	v_mov_b32_e32 v179, 0x358637bd                             // 00000000367C: 7F6602FF 358637BD
	v_max3_f32 v179, |v44|, |v45|, v179                        // 000000003684: D1D303B3 06CE5B2C
	v_max3_f32 v179, |v46|, |v47|, v179                        // 00000000368C: D1D303B3 06CE5F2E
	v_max3_f32 v179, |v48|, |v49|, v179                        // 000000003694: D1D303B3 06CE6330
	v_max3_f32 v179, |v50|, |v51|, v179                        // 00000000369C: D1D303B3 06CE6732
	v_max_f32_dpp v176, v176, v176 row_shl:8 row_mask:0xf bank_mask:0xf bound_ctrl:1// 0000000036A4: 176160FA FF0908B0
	v_max_f32_dpp v177, v177, v177 row_shl:8 row_mask:0xf bank_mask:0xf bound_ctrl:1// 0000000036AC: 176362FA FF0908B1
	v_max_f32_dpp v178, v178, v178 row_shl:8 row_mask:0xf bank_mask:0xf bound_ctrl:1// 0000000036B4: 176564FA FF0908B2
	v_max_f32_dpp v179, v179, v179 row_shl:8 row_mask:0xf bank_mask:0xf bound_ctrl:1// 0000000036BC: 176766FA FF0908B3
	v_max_f32_dpp v176, v176, v176 row_shl:4 row_mask:0xf bank_mask:0xf bound_ctrl:1// 0000000036C4: 176160FA FF0904B0
	v_max_f32_dpp v177, v177, v177 row_shl:4 row_mask:0xf bank_mask:0xf bound_ctrl:1// 0000000036CC: 176362FA FF0904B1
	v_max_f32_dpp v178, v178, v178 row_shl:4 row_mask:0xf bank_mask:0xf bound_ctrl:1// 0000000036D4: 176564FA FF0904B2
	v_max_f32_dpp v179, v179, v179 row_shl:4 row_mask:0xf bank_mask:0xf bound_ctrl:1// 0000000036DC: 176766FA FF0904B3
	v_max_f32_dpp v176, v176, v176 row_shl:2 row_mask:0xf bank_mask:0xf bound_ctrl:1// 0000000036E4: 176160FA FF0902B0
	v_max_f32_dpp v177, v177, v177 row_shl:2 row_mask:0xf bank_mask:0xf bound_ctrl:1// 0000000036EC: 176362FA FF0902B1
	v_max_f32_dpp v178, v178, v178 row_shl:2 row_mask:0xf bank_mask:0xf bound_ctrl:1// 0000000036F4: 176564FA FF0902B2
	v_max_f32_dpp v179, v179, v179 row_shl:2 row_mask:0xf bank_mask:0xf bound_ctrl:1// 0000000036FC: 176766FA FF0902B3
	v_max_f32_dpp v176, v176, v176 row_shl:1 row_mask:0xf bank_mask:0xf bound_ctrl:1// 000000003704: 176160FA FF0901B0
	v_max_f32_dpp v177, v177, v177 row_shl:1 row_mask:0xf bank_mask:0xf bound_ctrl:1// 00000000370C: 176362FA FF0901B1
	v_max_f32_dpp v178, v178, v178 row_shl:1 row_mask:0xf bank_mask:0xf bound_ctrl:1// 000000003714: 176564FA FF0901B2
	v_max_f32_dpp v179, v179, v179 row_shl:1 row_mask:0xf bank_mask:0xf bound_ctrl:1// 00000000371C: 176766FA FF0901B3
	ds_write_b128 v241, v[176:179] offset:4096                 // 000000003724: D9BE1000 0000B0F1
	s_waitcnt lgkmcnt(0)                                       // 00000000372C: BF8CC07F
	s_barrier                                                  // 000000003730: BF8A0000
	ds_read_b128 v[176:179], v243 offset:4096                  // 000000003734: D9FE1000 B00000F3
	s_waitcnt lgkmcnt(0)                                       // 00000000373C: BF8CC07F
	v_rcp_f32_e32 v176, v176                                   // 000000003740: 7F6045B0
	v_rcp_f32_e32 v177, v177                                   // 000000003744: 7F6245B1
	v_rcp_f32_e32 v178, v178                                   // 000000003748: 7F6445B2
	v_rcp_f32_e32 v179, v179                                   // 00000000374C: 7F6645B3
	v_mul_f32_e32 v176, 0x43700000, v176                       // 000000003750: 0B6160FF 43700000
	v_mul_f32_e32 v177, 0x43700000, v177                       // 000000003758: 0B6362FF 43700000
	v_mul_f32_e32 v178, 0x43700000, v178                       // 000000003760: 0B6564FF 43700000
	v_mul_f32_e32 v179, 0x43700000, v179                       // 000000003768: 0B6766FF 43700000
	s_lshl_b32 s54, s57, 2                                     // 000000003770: 8E368239
	v_lshrrev_b32_e32 v199, 4, v0                              // 000000003774: 218E0084
	v_add_u32_e32 v199, s54, v199                              // 000000003778: 698F8E36
	v_lshlrev_b32_e32 v199, 2, v199                            // 00000000377C: 258F8E82
	ds_bpermute_b32 v196, v199, v176                           // 000000003780: D87E0000 C400B0C7
	ds_bpermute_b32 v197, v199, v177                           // 000000003788: D87E0000 C500B1C7
	ds_bpermute_b32 v198, v199, v178                           // 000000003790: D87E0000 C600B2C7
	ds_bpermute_b32 v199, v199, v179                           // 000000003798: D87E0000 C700B3C7
	v_rcp_f32_e32 v132, v176                                   // 0000000037A0: 7F0845B0
	v_rcp_f32_e32 v134, v177                                   // 0000000037A4: 7F0C45B1
	v_rcp_f32_e32 v136, v178                                   // 0000000037A8: 7F1045B2
	v_rcp_f32_e32 v138, v179                                   // 0000000037AC: 7F1445B3
	v_mov_b32_e32 v133, v132                                   // 0000000037B0: 7F0A0384
	v_mov_b32_e32 v135, v134                                   // 0000000037B4: 7F0E0386
	v_mov_b32_e32 v137, v136                                   // 0000000037B8: 7F120388
	v_mov_b32_e32 v139, v138                                   // 0000000037BC: 7F16038A
	s_waitcnt lgkmcnt(0)                                       // 0000000037C0: BF8CC07F
	v_mul_f32_e32 v20, v20, v196                               // 0000000037C4: 0A298914
	v_mul_f32_e32 v21, v21, v196                               // 0000000037C8: 0A2B8915
	v_mul_f32_e32 v22, v22, v196                               // 0000000037CC: 0A2D8916
	v_mul_f32_e32 v23, v23, v196                               // 0000000037D0: 0A2F8917
	v_mul_f32_e32 v24, v24, v196                               // 0000000037D4: 0A318918
	v_mul_f32_e32 v25, v25, v196                               // 0000000037D8: 0A338919
	v_mul_f32_e32 v26, v26, v196                               // 0000000037DC: 0A35891A
	v_mul_f32_e32 v27, v27, v196                               // 0000000037E0: 0A37891B
	v_mul_f32_e32 v28, v28, v197                               // 0000000037E4: 0A398B1C
	v_mul_f32_e32 v29, v29, v197                               // 0000000037E8: 0A3B8B1D
	v_mul_f32_e32 v30, v30, v197                               // 0000000037EC: 0A3D8B1E
	v_mul_f32_e32 v31, v31, v197                               // 0000000037F0: 0A3F8B1F
	v_mul_f32_e32 v32, v32, v197                               // 0000000037F4: 0A418B20
	v_mul_f32_e32 v33, v33, v197                               // 0000000037F8: 0A438B21
	v_mul_f32_e32 v34, v34, v197                               // 0000000037FC: 0A458B22
	v_mul_f32_e32 v35, v35, v197                               // 000000003800: 0A478B23
	v_mul_f32_e32 v36, v36, v198                               // 000000003804: 0A498D24
	v_mul_f32_e32 v37, v37, v198                               // 000000003808: 0A4B8D25
	v_mul_f32_e32 v38, v38, v198                               // 00000000380C: 0A4D8D26
	v_mul_f32_e32 v39, v39, v198                               // 000000003810: 0A4F8D27
	v_mul_f32_e32 v40, v40, v198                               // 000000003814: 0A518D28
	v_mul_f32_e32 v41, v41, v198                               // 000000003818: 0A538D29
	v_mul_f32_e32 v42, v42, v198                               // 00000000381C: 0A558D2A
	v_mul_f32_e32 v43, v43, v198                               // 000000003820: 0A578D2B
	v_mul_f32_e32 v44, v44, v199                               // 000000003824: 0A598F2C
	v_mul_f32_e32 v45, v45, v199                               // 000000003828: 0A5B8F2D
	v_mul_f32_e32 v46, v46, v199                               // 00000000382C: 0A5D8F2E
	v_mul_f32_e32 v47, v47, v199                               // 000000003830: 0A5F8F2F
	v_mul_f32_e32 v48, v48, v199                               // 000000003834: 0A618F30
	v_mul_f32_e32 v49, v49, v199                               // 000000003838: 0A638F31
	v_mul_f32_e32 v50, v50, v199                               // 00000000383C: 0A658F32
	v_mul_f32_e32 v51, v51, v199                               // 000000003840: 0A678F33
	v_cvt_pk_fp8_f32 v20, v20, v21                             // 000000003844: D2A20014 00022B14
	v_cvt_pk_fp8_f32 v20, v22, v23 op_sel:[0,0,1]              // 00000000384C: D2A24014 00022F16
	v_cvt_pk_fp8_f32 v21, v24, v25                             // 000000003854: D2A20015 00023318
	v_cvt_pk_fp8_f32 v21, v26, v27 op_sel:[0,0,1]              // 00000000385C: D2A24015 0002371A
	v_cvt_pk_fp8_f32 v22, v28, v29                             // 000000003864: D2A20016 00023B1C
	v_cvt_pk_fp8_f32 v22, v30, v31 op_sel:[0,0,1]              // 00000000386C: D2A24016 00023F1E
	v_cvt_pk_fp8_f32 v23, v32, v33                             // 000000003874: D2A20017 00024320
	v_cvt_pk_fp8_f32 v23, v34, v35 op_sel:[0,0,1]              // 00000000387C: D2A24017 00024722
	v_cvt_pk_fp8_f32 v24, v36, v37                             // 000000003884: D2A20018 00024B24
	v_cvt_pk_fp8_f32 v24, v38, v39 op_sel:[0,0,1]              // 00000000388C: D2A24018 00024F26
	v_cvt_pk_fp8_f32 v25, v40, v41                             // 000000003894: D2A20019 00025328
	v_cvt_pk_fp8_f32 v25, v42, v43 op_sel:[0,0,1]              // 00000000389C: D2A24019 0002572A
	v_cvt_pk_fp8_f32 v26, v44, v45                             // 0000000038A4: D2A2001A 00025B2C
	v_cvt_pk_fp8_f32 v26, v46, v47 op_sel:[0,0,1]              // 0000000038AC: D2A2401A 00025F2E
	v_cvt_pk_fp8_f32 v27, v48, v49                             // 0000000038B4: D2A2001B 00026330
	v_cvt_pk_fp8_f32 v27, v50, v51 op_sel:[0,0,1]              // 0000000038BC: D2A2401B 00026732
	ds_write_b64 v242, v[20:21] offset:8192                    // 0000000038C4: D89A2000 000014F2
	ds_write_b64 v242, v[22:23] offset:10496                   // 0000000038CC: D89A2900 000016F2
	ds_write_b64 v242, v[24:25] offset:12800                   // 0000000038D4: D89A3200 000018F2
	ds_write_b64 v242, v[26:27] offset:15104                   // 0000000038DC: D89A3B00 00001AF2
	s_waitcnt lgkmcnt(0)                                       // 0000000038E4: BF8CC07F
	s_barrier                                                  // 0000000038E8: BF8A0000
	ds_read_b128 a[0:3], v244 offset:8192                      // 0000000038EC: DBFE2000 000000F4
	ds_read_b128 a[4:7], v244 offset:8256                      // 0000000038F4: DBFE2040 040000F4
	ds_read_b128 a[8:11], v244 offset:10496                    // 0000000038FC: DBFE2900 080000F4
	ds_read_b128 a[12:15], v244 offset:10560                   // 000000003904: DBFE2940 0C0000F4
	ds_read_b128 a[16:19], v244 offset:12800                   // 00000000390C: DBFE3200 100000F4
	ds_read_b128 a[20:23], v244 offset:12864                   // 000000003914: DBFE3240 140000F4
	ds_read_b128 a[24:27], v244 offset:15104                   // 00000000391C: DBFE3B00 180000F4
	ds_read_b128 a[28:31], v244 offset:15168                   // 000000003924: DBFE3B40 1C0000F4
	s_waitcnt lgkmcnt(0)                                       // 00000000392C: BF8CC07F
	s_cmp_lt_i32 s57, 2                                        // 000000003930: BF048239
	s_cbranch_scc0 label_0FA4                                  // 000000003934: BF840AD6

0000000000003938 <label_04CE>:
	s_cmp_lt_i32 s64, s63                                      // 000000003938: BF043F40
	s_cbranch_scc0 label_1A7A                                  // 00000000393C: BF8415AA
	s_waitcnt vmcnt(10)                                        // 000000003940: BF8C0F7A
	s_lshl_b32 s68, s76, 2                                     // 000000003944: 8E44824C
	s_cmp_lt_u32 s76, s77                                      // 000000003948: BF0A4D4C
	s_cselect_b32 s68, s68, 0                                  // 00000000394C: 85448044
	s_addk_i32 s76, 0x1                                        // 000000003950: B74C0001
	s_load_dword s59, s[42:43], s68                            // 000000003954: C0000ED5 00000044
	s_waitcnt lgkmcnt(0)                                       // 00000000395C: BF8CC07F
	s_mul_i32 s69, s59, s50                                    // 000000003960: 9245323B
	s_mul_i32 s71, s59, s66                                    // 000000003964: 9247423B
	s_mul_i32 s54, s78, s51                                    // 000000003968: 9236334E
	s_add_u32 s69, s69, s54                                    // 00000000396C: 80453645
	s_mov_b32 s70, s69                                         // 000000003970: BEC60045
	s_mul_i32 s54, s78, 4                                      // 000000003974: 9236844E
	s_add_u32 s71, s71, s54                                    // 000000003978: 80473647
	s_add_u32 s12, s86, s69                                    // 00000000397C: 800C4556
	s_addc_u32 s13, s87, 0                                     // 000000003980: 820D8057
	s_add_u32 s16, s88, s70                                    // 000000003984: 80104658
	s_addc_u32 s17, s89, 0                                     // 000000003988: 82118059
	s_add_u32 s20, s90, s71                                    // 00000000398C: 8014475A
	s_addc_u32 s21, s91, 0                                     // 000000003990: 8215805B
	s_add_u32 s24, s92, s71                                    // 000000003994: 8018475C
	s_addc_u32 s25, s93, 0                                     // 000000003998: 8219805D
	v_mfma_f32_16x16x32_fp8_fp8 v[4:7], a[32:33], a[0:1], 0    // 00000000399C: D3F30004 1A020120
	v_mfma_f32_16x16x32_fp8_fp8 v[4:7], a[34:35], a[2:3], v[4:7]// 0000000039A4: D3F30004 1C120522
	v_mfma_f32_16x16x32_fp8_fp8 v[4:7], a[36:37], a[4:5], v[4:7]// 0000000039AC: D3F30004 1C120924
	buffer_load_dwordx4 a[64:67], v225, s[12:15], 0 offen      // 0000000039B4: E05C1000 808340E1
	v_mfma_f32_16x16x32_fp8_fp8 v[4:7], a[38:39], a[6:7], v[4:7]// 0000000039BC: D3F30004 1C120D26
	v_mfma_f32_16x16x32_fp8_fp8 v[8:11], a[40:41], a[0:1], 0   // 0000000039C4: D3F30008 1A020128
	v_mfma_f32_16x16x32_fp8_fp8 v[8:11], a[42:43], a[2:3], v[8:11]// 0000000039CC: D3F30008 1C22052A
	v_mfma_f32_16x16x32_fp8_fp8 v[8:11], a[44:45], a[4:5], v[8:11]// 0000000039D4: D3F30008 1C22092C
	buffer_load_dwordx4 a[68:71], v226, s[12:15], 0 offen      // 0000000039DC: E05C1000 808344E2
	v_mfma_f32_16x16x32_fp8_fp8 v[8:11], a[46:47], a[6:7], v[8:11]// 0000000039E4: D3F30008 1C220D2E
	v_mfma_f32_16x16x32_fp8_fp8 v[12:15], a[48:49], a[0:1], 0  // 0000000039EC: D3F3000C 1A020130
	v_mfma_f32_16x16x32_fp8_fp8 v[12:15], a[50:51], a[2:3], v[12:15]// 0000000039F4: D3F3000C 1C320532
	v_mfma_f32_16x16x32_fp8_fp8 v[12:15], a[52:53], a[4:5], v[12:15]// 0000000039FC: D3F3000C 1C320934
	buffer_load_dwordx4 a[72:75], v225, s[12:15], 0 offen offset:1024// 000000003A04: E05C1400 808348E1
	v_mfma_f32_16x16x32_fp8_fp8 v[12:15], a[54:55], a[6:7], v[12:15]// 000000003A0C: D3F3000C 1C320D36
	v_mfma_f32_16x16x32_fp8_fp8 v[16:19], a[56:57], a[0:1], 0  // 000000003A14: D3F30010 1A020138
	v_mfma_f32_16x16x32_fp8_fp8 v[16:19], a[58:59], a[2:3], v[16:19]// 000000003A1C: D3F30010 1C42053A
	v_mfma_f32_16x16x32_fp8_fp8 v[16:19], a[60:61], a[4:5], v[16:19]// 000000003A24: D3F30010 1C42093C
	buffer_load_dwordx4 a[76:79], v226, s[12:15], 0 offen offset:1024// 000000003A2C: E05C1400 80834CE2
	v_mfma_f32_16x16x32_fp8_fp8 v[16:19], a[62:63], a[6:7], v[16:19]// 000000003A34: D3F30010 1C420D3E
	v_mfma_f32_16x16x32_fp8_fp8 v[20:23], a[32:33], a[8:9], 0  // 000000003A3C: D3F30014 1A021120
	v_mfma_f32_16x16x32_fp8_fp8 v[20:23], a[34:35], a[10:11], v[20:23]// 000000003A44: D3F30014 1C521522
	v_mfma_f32_16x16x32_fp8_fp8 v[20:23], a[36:37], a[12:13], v[20:23]// 000000003A4C: D3F30014 1C521924
	buffer_load_dwordx4 a[80:83], v225, s[12:15], 0 offen offset:2048// 000000003A54: E05C1800 808350E1
	v_mfma_f32_16x16x32_fp8_fp8 v[20:23], a[38:39], a[14:15], v[20:23]// 000000003A5C: D3F30014 1C521D26
	v_mfma_f32_16x16x32_fp8_fp8 v[24:27], a[40:41], a[8:9], 0  // 000000003A64: D3F30018 1A021128
	v_mfma_f32_16x16x32_fp8_fp8 v[24:27], a[42:43], a[10:11], v[24:27]// 000000003A6C: D3F30018 1C62152A
	v_mfma_f32_16x16x32_fp8_fp8 v[24:27], a[44:45], a[12:13], v[24:27]// 000000003A74: D3F30018 1C62192C
	buffer_load_dwordx4 a[84:87], v226, s[12:15], 0 offen offset:2048// 000000003A7C: E05C1800 808354E2
	v_mfma_f32_16x16x32_fp8_fp8 v[24:27], a[46:47], a[14:15], v[24:27]// 000000003A84: D3F30018 1C621D2E
	v_mfma_f32_16x16x32_fp8_fp8 v[28:31], a[48:49], a[8:9], 0  // 000000003A8C: D3F3001C 1A021130
	v_mfma_f32_16x16x32_fp8_fp8 v[28:31], a[50:51], a[10:11], v[28:31]// 000000003A94: D3F3001C 1C721532
	v_mfma_f32_16x16x32_fp8_fp8 v[28:31], a[52:53], a[12:13], v[28:31]// 000000003A9C: D3F3001C 1C721934
	buffer_load_dwordx4 a[88:91], v225, s[12:15], 0 offen offset:3072// 000000003AA4: E05C1C00 808358E1
	v_mfma_f32_16x16x32_fp8_fp8 v[28:31], a[54:55], a[14:15], v[28:31]// 000000003AAC: D3F3001C 1C721D36
	v_mfma_f32_16x16x32_fp8_fp8 v[32:35], a[56:57], a[8:9], 0  // 000000003AB4: D3F30020 1A021138
	v_mfma_f32_16x16x32_fp8_fp8 v[32:35], a[58:59], a[10:11], v[32:35]// 000000003ABC: D3F30020 1C82153A
	v_mfma_f32_16x16x32_fp8_fp8 v[32:35], a[60:61], a[12:13], v[32:35]// 000000003AC4: D3F30020 1C82193C
	buffer_load_dwordx4 a[92:95], v226, s[12:15], 0 offen offset:3072// 000000003ACC: E05C1C00 80835CE2
	v_mfma_f32_16x16x32_fp8_fp8 v[32:35], a[62:63], a[14:15], v[32:35]// 000000003AD4: D3F30020 1C821D3E
	v_mfma_f32_16x16x32_fp8_fp8 v[36:39], a[32:33], a[16:17], 0// 000000003ADC: D3F30024 1A022120
	v_mfma_f32_16x16x32_fp8_fp8 v[36:39], a[34:35], a[18:19], v[36:39]// 000000003AE4: D3F30024 1C922522
	v_mfma_f32_16x16x32_fp8_fp8 v[36:39], a[36:37], a[20:21], v[36:39]// 000000003AEC: D3F30024 1C922924
	v_mfma_f32_16x16x32_fp8_fp8 v[36:39], a[38:39], a[22:23], v[36:39]// 000000003AF4: D3F30024 1C922D26
	v_mfma_f32_16x16x32_fp8_fp8 v[40:43], a[40:41], a[16:17], 0// 000000003AFC: D3F30028 1A022128
	v_mfma_f32_16x16x32_fp8_fp8 v[40:43], a[42:43], a[18:19], v[40:43]// 000000003B04: D3F30028 1CA2252A
	v_mfma_f32_16x16x32_fp8_fp8 v[40:43], a[44:45], a[20:21], v[40:43]// 000000003B0C: D3F30028 1CA2292C
	v_mfma_f32_16x16x32_fp8_fp8 v[40:43], a[46:47], a[22:23], v[40:43]// 000000003B14: D3F30028 1CA22D2E
	v_mfma_f32_16x16x32_fp8_fp8 v[44:47], a[48:49], a[16:17], 0// 000000003B1C: D3F3002C 1A022130
	v_mfma_f32_16x16x32_fp8_fp8 v[44:47], a[50:51], a[18:19], v[44:47]// 000000003B24: D3F3002C 1CB22532
	v_mfma_f32_16x16x32_fp8_fp8 v[44:47], a[52:53], a[20:21], v[44:47]// 000000003B2C: D3F3002C 1CB22934
	v_mfma_f32_16x16x32_fp8_fp8 v[44:47], a[54:55], a[22:23], v[44:47]// 000000003B34: D3F3002C 1CB22D36
	v_mfma_f32_16x16x32_fp8_fp8 v[48:51], a[56:57], a[16:17], 0// 000000003B3C: D3F30030 1A022138
	v_mfma_f32_16x16x32_fp8_fp8 v[48:51], a[58:59], a[18:19], v[48:51]// 000000003B44: D3F30030 1CC2253A
	v_mfma_f32_16x16x32_fp8_fp8 v[48:51], a[60:61], a[20:21], v[48:51]// 000000003B4C: D3F30030 1CC2293C
	v_mfma_f32_16x16x32_fp8_fp8 v[48:51], a[62:63], a[22:23], v[48:51]// 000000003B54: D3F30030 1CC22D3E
	v_mfma_f32_16x16x32_fp8_fp8 v[52:55], a[32:33], a[24:25], 0// 000000003B5C: D3F30034 1A023120
	v_mfma_f32_16x16x32_fp8_fp8 v[52:55], a[34:35], a[26:27], v[52:55]// 000000003B64: D3F30034 1CD23522
	v_mfma_f32_16x16x32_fp8_fp8 v[52:55], a[36:37], a[28:29], v[52:55]// 000000003B6C: D3F30034 1CD23924
	v_mfma_f32_16x16x32_fp8_fp8 v[52:55], a[38:39], a[30:31], v[52:55]// 000000003B74: D3F30034 1CD23D26
	v_mfma_f32_16x16x32_fp8_fp8 v[56:59], a[40:41], a[24:25], 0// 000000003B7C: D3F30038 1A023128
	v_mfma_f32_16x16x32_fp8_fp8 v[56:59], a[42:43], a[26:27], v[56:59]// 000000003B84: D3F30038 1CE2352A
	v_mfma_f32_16x16x32_fp8_fp8 v[56:59], a[44:45], a[28:29], v[56:59]// 000000003B8C: D3F30038 1CE2392C
	v_mfma_f32_16x16x32_fp8_fp8 v[56:59], a[46:47], a[30:31], v[56:59]// 000000003B94: D3F30038 1CE23D2E
	v_mfma_f32_16x16x32_fp8_fp8 v[60:63], a[48:49], a[24:25], 0// 000000003B9C: D3F3003C 1A023130
	v_mfma_f32_16x16x32_fp8_fp8 v[60:63], a[50:51], a[26:27], v[60:63]// 000000003BA4: D3F3003C 1CF23532
	v_mfma_f32_16x16x32_fp8_fp8 v[60:63], a[52:53], a[28:29], v[60:63]// 000000003BAC: D3F3003C 1CF23934
	v_mfma_f32_16x16x32_fp8_fp8 v[60:63], a[54:55], a[30:31], v[60:63]// 000000003BB4: D3F3003C 1CF23D36
	v_mfma_f32_16x16x32_fp8_fp8 v[64:67], a[56:57], a[24:25], 0// 000000003BBC: D3F30040 1A023138
	v_mfma_f32_16x16x32_fp8_fp8 v[64:67], a[58:59], a[26:27], v[64:67]// 000000003BC4: D3F30040 1D02353A
	v_mfma_f32_16x16x32_fp8_fp8 v[64:67], a[60:61], a[28:29], v[64:67]// 000000003BCC: D3F30040 1D02393C
	v_mfma_f32_16x16x32_fp8_fp8 v[64:67], a[62:63], a[30:31], v[64:67]// 000000003BD4: D3F30040 1D023D3E
	s_waitcnt vmcnt(16)                                        // 000000003BDC: BF8C4F70
	v_pk_mul_f32 v[4:5], v[132:133], v[4:5]                    // 000000003BE0: D3B14004 18020984
	v_pk_mul_f32 v[6:7], v[132:133], v[6:7]                    // 000000003BE8: D3B14006 18020D84
	v_mul_f32_dpp v4, v140, v4 row_newbcast:0 row_mask:0xf bank_mask:0xf// 000000003BF0: 0A0808FA FF01508C
	v_mul_f32_dpp v5, v140, v5 row_newbcast:1 row_mask:0xf bank_mask:0xf// 000000003BF8: 0A0A0AFA FF01518C
	v_mul_f32_dpp v6, v140, v6 row_newbcast:2 row_mask:0xf bank_mask:0xf// 000000003C00: 0A0C0CFA FF01528C
	v_mul_f32_dpp v7, v140, v7 row_newbcast:3 row_mask:0xf bank_mask:0xf// 000000003C08: 0A0E0EFA FF01538C
	v_pk_mul_f32 v[8:9], v[132:133], v[8:9]                    // 000000003C10: D3B14008 18021184
	v_pk_mul_f32 v[10:11], v[132:133], v[10:11]                // 000000003C18: D3B1400A 18021584
	v_mul_f32_dpp v8, v140, v8 row_newbcast:4 row_mask:0xf bank_mask:0xf// 000000003C20: 0A1010FA FF01548C
	v_mul_f32_dpp v9, v140, v9 row_newbcast:5 row_mask:0xf bank_mask:0xf// 000000003C28: 0A1212FA FF01558C
	v_mul_f32_dpp v10, v140, v10 row_newbcast:6 row_mask:0xf bank_mask:0xf// 000000003C30: 0A1414FA FF01568C
	v_mul_f32_dpp v11, v140, v11 row_newbcast:7 row_mask:0xf bank_mask:0xf// 000000003C38: 0A1616FA FF01578C
	v_pk_mul_f32 v[12:13], v[132:133], v[12:13]                // 000000003C40: D3B1400C 18021984
	v_pk_mul_f32 v[14:15], v[132:133], v[14:15]                // 000000003C48: D3B1400E 18021D84
	v_mul_f32_dpp v12, v140, v12 row_newbcast:8 row_mask:0xf bank_mask:0xf// 000000003C50: 0A1818FA FF01588C
	v_mul_f32_dpp v13, v140, v13 row_newbcast:9 row_mask:0xf bank_mask:0xf// 000000003C58: 0A1A1AFA FF01598C
	v_mul_f32_dpp v14, v140, v14 row_newbcast:10 row_mask:0xf bank_mask:0xf// 000000003C60: 0A1C1CFA FF015A8C
	v_mul_f32_dpp v15, v140, v15 row_newbcast:11 row_mask:0xf bank_mask:0xf// 000000003C68: 0A1E1EFA FF015B8C
	v_pk_mul_f32 v[16:17], v[132:133], v[16:17]                // 000000003C70: D3B14010 18022184
	v_pk_mul_f32 v[18:19], v[132:133], v[18:19]                // 000000003C78: D3B14012 18022584
	v_mul_f32_dpp v16, v140, v16 row_newbcast:12 row_mask:0xf bank_mask:0xf// 000000003C80: 0A2020FA FF015C8C
	v_mul_f32_dpp v17, v140, v17 row_newbcast:13 row_mask:0xf bank_mask:0xf// 000000003C88: 0A2222FA FF015D8C
	v_mul_f32_dpp v18, v140, v18 row_newbcast:14 row_mask:0xf bank_mask:0xf// 000000003C90: 0A2424FA FF015E8C
	v_mul_f32_dpp v19, v140, v19 row_newbcast:15 row_mask:0xf bank_mask:0xf// 000000003C98: 0A2626FA FF015F8C
	v_pk_mul_f32 v[20:21], v[134:135], v[20:21]                // 000000003CA0: D3B14014 18022986
	v_pk_mul_f32 v[22:23], v[134:135], v[22:23]                // 000000003CA8: D3B14016 18022D86
	v_mul_f32_dpp v20, v140, v20 row_newbcast:0 row_mask:0xf bank_mask:0xf// 000000003CB0: 0A2828FA FF01508C
	v_mul_f32_dpp v21, v140, v21 row_newbcast:1 row_mask:0xf bank_mask:0xf// 000000003CB8: 0A2A2AFA FF01518C
	v_mul_f32_dpp v22, v140, v22 row_newbcast:2 row_mask:0xf bank_mask:0xf// 000000003CC0: 0A2C2CFA FF01528C
	v_mul_f32_dpp v23, v140, v23 row_newbcast:3 row_mask:0xf bank_mask:0xf// 000000003CC8: 0A2E2EFA FF01538C
	v_pk_mul_f32 v[24:25], v[134:135], v[24:25]                // 000000003CD0: D3B14018 18023186
	v_pk_mul_f32 v[26:27], v[134:135], v[26:27]                // 000000003CD8: D3B1401A 18023586
	v_mul_f32_dpp v24, v140, v24 row_newbcast:4 row_mask:0xf bank_mask:0xf// 000000003CE0: 0A3030FA FF01548C
	v_mul_f32_dpp v25, v140, v25 row_newbcast:5 row_mask:0xf bank_mask:0xf// 000000003CE8: 0A3232FA FF01558C
	v_mul_f32_dpp v26, v140, v26 row_newbcast:6 row_mask:0xf bank_mask:0xf// 000000003CF0: 0A3434FA FF01568C
	v_mul_f32_dpp v27, v140, v27 row_newbcast:7 row_mask:0xf bank_mask:0xf// 000000003CF8: 0A3636FA FF01578C
	v_pk_mul_f32 v[28:29], v[134:135], v[28:29]                // 000000003D00: D3B1401C 18023986
	v_pk_mul_f32 v[30:31], v[134:135], v[30:31]                // 000000003D08: D3B1401E 18023D86
	v_mul_f32_dpp v28, v140, v28 row_newbcast:8 row_mask:0xf bank_mask:0xf// 000000003D10: 0A3838FA FF01588C
	v_mul_f32_dpp v29, v140, v29 row_newbcast:9 row_mask:0xf bank_mask:0xf// 000000003D18: 0A3A3AFA FF01598C
	v_mul_f32_dpp v30, v140, v30 row_newbcast:10 row_mask:0xf bank_mask:0xf// 000000003D20: 0A3C3CFA FF015A8C
	v_mul_f32_dpp v31, v140, v31 row_newbcast:11 row_mask:0xf bank_mask:0xf// 000000003D28: 0A3E3EFA FF015B8C
	v_pk_mul_f32 v[32:33], v[134:135], v[32:33]                // 000000003D30: D3B14020 18024186
	v_pk_mul_f32 v[34:35], v[134:135], v[34:35]                // 000000003D38: D3B14022 18024586
	v_mul_f32_dpp v32, v140, v32 row_newbcast:12 row_mask:0xf bank_mask:0xf// 000000003D40: 0A4040FA FF015C8C
	v_mul_f32_dpp v33, v140, v33 row_newbcast:13 row_mask:0xf bank_mask:0xf// 000000003D48: 0A4242FA FF015D8C
	v_mul_f32_dpp v34, v140, v34 row_newbcast:14 row_mask:0xf bank_mask:0xf// 000000003D50: 0A4444FA FF015E8C
	v_mul_f32_dpp v35, v140, v35 row_newbcast:15 row_mask:0xf bank_mask:0xf// 000000003D58: 0A4646FA FF015F8C
	v_pk_mul_f32 v[36:37], v[136:137], v[36:37]                // 000000003D60: D3B14024 18024988
	v_pk_mul_f32 v[38:39], v[136:137], v[38:39]                // 000000003D68: D3B14026 18024D88
	v_mul_f32_dpp v36, v140, v36 row_newbcast:0 row_mask:0xf bank_mask:0xf// 000000003D70: 0A4848FA FF01508C
	v_mul_f32_dpp v37, v140, v37 row_newbcast:1 row_mask:0xf bank_mask:0xf// 000000003D78: 0A4A4AFA FF01518C
	v_mul_f32_dpp v38, v140, v38 row_newbcast:2 row_mask:0xf bank_mask:0xf// 000000003D80: 0A4C4CFA FF01528C
	v_mul_f32_dpp v39, v140, v39 row_newbcast:3 row_mask:0xf bank_mask:0xf// 000000003D88: 0A4E4EFA FF01538C
	v_pk_mul_f32 v[40:41], v[136:137], v[40:41]                // 000000003D90: D3B14028 18025188
	v_pk_mul_f32 v[42:43], v[136:137], v[42:43]                // 000000003D98: D3B1402A 18025588
	v_mul_f32_dpp v40, v140, v40 row_newbcast:4 row_mask:0xf bank_mask:0xf// 000000003DA0: 0A5050FA FF01548C
	v_mul_f32_dpp v41, v140, v41 row_newbcast:5 row_mask:0xf bank_mask:0xf// 000000003DA8: 0A5252FA FF01558C
	v_mul_f32_dpp v42, v140, v42 row_newbcast:6 row_mask:0xf bank_mask:0xf// 000000003DB0: 0A5454FA FF01568C
	v_mul_f32_dpp v43, v140, v43 row_newbcast:7 row_mask:0xf bank_mask:0xf// 000000003DB8: 0A5656FA FF01578C
	v_pk_mul_f32 v[44:45], v[136:137], v[44:45]                // 000000003DC0: D3B1402C 18025988
	v_pk_mul_f32 v[46:47], v[136:137], v[46:47]                // 000000003DC8: D3B1402E 18025D88
	v_mul_f32_dpp v44, v140, v44 row_newbcast:8 row_mask:0xf bank_mask:0xf// 000000003DD0: 0A5858FA FF01588C
	v_mul_f32_dpp v45, v140, v45 row_newbcast:9 row_mask:0xf bank_mask:0xf// 000000003DD8: 0A5A5AFA FF01598C
	v_mul_f32_dpp v46, v140, v46 row_newbcast:10 row_mask:0xf bank_mask:0xf// 000000003DE0: 0A5C5CFA FF015A8C
	v_mul_f32_dpp v47, v140, v47 row_newbcast:11 row_mask:0xf bank_mask:0xf// 000000003DE8: 0A5E5EFA FF015B8C
	v_pk_mul_f32 v[48:49], v[136:137], v[48:49]                // 000000003DF0: D3B14030 18026188
	v_pk_mul_f32 v[50:51], v[136:137], v[50:51]                // 000000003DF8: D3B14032 18026588
	v_mul_f32_dpp v48, v140, v48 row_newbcast:12 row_mask:0xf bank_mask:0xf// 000000003E00: 0A6060FA FF015C8C
	v_mul_f32_dpp v49, v140, v49 row_newbcast:13 row_mask:0xf bank_mask:0xf// 000000003E08: 0A6262FA FF015D8C
	v_mul_f32_dpp v50, v140, v50 row_newbcast:14 row_mask:0xf bank_mask:0xf// 000000003E10: 0A6464FA FF015E8C
	v_mul_f32_dpp v51, v140, v51 row_newbcast:15 row_mask:0xf bank_mask:0xf// 000000003E18: 0A6666FA FF015F8C
	v_pk_mul_f32 v[52:53], v[138:139], v[52:53]                // 000000003E20: D3B14034 1802698A
	v_pk_mul_f32 v[54:55], v[138:139], v[54:55]                // 000000003E28: D3B14036 18026D8A
	v_mul_f32_dpp v52, v140, v52 row_newbcast:0 row_mask:0xf bank_mask:0xf// 000000003E30: 0A6868FA FF01508C
	v_mul_f32_dpp v53, v140, v53 row_newbcast:1 row_mask:0xf bank_mask:0xf// 000000003E38: 0A6A6AFA FF01518C
	v_mul_f32_dpp v54, v140, v54 row_newbcast:2 row_mask:0xf bank_mask:0xf// 000000003E40: 0A6C6CFA FF01528C
	v_mul_f32_dpp v55, v140, v55 row_newbcast:3 row_mask:0xf bank_mask:0xf// 000000003E48: 0A6E6EFA FF01538C
	v_pk_mul_f32 v[56:57], v[138:139], v[56:57]                // 000000003E50: D3B14038 1802718A
	v_pk_mul_f32 v[58:59], v[138:139], v[58:59]                // 000000003E58: D3B1403A 1802758A
	v_mul_f32_dpp v56, v140, v56 row_newbcast:4 row_mask:0xf bank_mask:0xf// 000000003E60: 0A7070FA FF01548C
	v_mul_f32_dpp v57, v140, v57 row_newbcast:5 row_mask:0xf bank_mask:0xf// 000000003E68: 0A7272FA FF01558C
	v_mul_f32_dpp v58, v140, v58 row_newbcast:6 row_mask:0xf bank_mask:0xf// 000000003E70: 0A7474FA FF01568C
	v_mul_f32_dpp v59, v140, v59 row_newbcast:7 row_mask:0xf bank_mask:0xf// 000000003E78: 0A7676FA FF01578C
	v_pk_mul_f32 v[60:61], v[138:139], v[60:61]                // 000000003E80: D3B1403C 1802798A
	v_pk_mul_f32 v[62:63], v[138:139], v[62:63]                // 000000003E88: D3B1403E 18027D8A
	v_mul_f32_dpp v60, v140, v60 row_newbcast:8 row_mask:0xf bank_mask:0xf// 000000003E90: 0A7878FA FF01588C
	v_mul_f32_dpp v61, v140, v61 row_newbcast:9 row_mask:0xf bank_mask:0xf// 000000003E98: 0A7A7AFA FF01598C
	v_mul_f32_dpp v62, v140, v62 row_newbcast:10 row_mask:0xf bank_mask:0xf// 000000003EA0: 0A7C7CFA FF015A8C
	v_mul_f32_dpp v63, v140, v63 row_newbcast:11 row_mask:0xf bank_mask:0xf// 000000003EA8: 0A7E7EFA FF015B8C
	v_pk_mul_f32 v[64:65], v[138:139], v[64:65]                // 000000003EB0: D3B14040 1802818A
	v_pk_mul_f32 v[66:67], v[138:139], v[66:67]                // 000000003EB8: D3B14042 1802858A
	v_mul_f32_dpp v64, v140, v64 row_newbcast:12 row_mask:0xf bank_mask:0xf// 000000003EC0: 0A8080FA FF015C8C
	v_mul_f32_dpp v65, v140, v65 row_newbcast:13 row_mask:0xf bank_mask:0xf// 000000003EC8: 0A8282FA FF015D8C
	v_mul_f32_dpp v66, v140, v66 row_newbcast:14 row_mask:0xf bank_mask:0xf// 000000003ED0: 0A8484FA FF015E8C
	v_mul_f32_dpp v67, v140, v67 row_newbcast:15 row_mask:0xf bank_mask:0xf// 000000003ED8: 0A8686FA FF015F8C
	v_mov_b32_e32 v176, v4                                     // 000000003EE0: 7F600304
	v_max3_f32 v176, v4, v5, v176                              // 000000003EE4: D1D300B0 06C20B04
	v_max3_f32 v176, v6, v7, v176                              // 000000003EEC: D1D300B0 06C20F06
	v_max3_f32 v176, v8, v9, v176                              // 000000003EF4: D1D300B0 06C21308
	v_max3_f32 v176, v10, v11, v176                            // 000000003EFC: D1D300B0 06C2170A
	v_max3_f32 v176, v12, v13, v176                            // 000000003F04: D1D300B0 06C21B0C
	v_max3_f32 v176, v14, v15, v176                            // 000000003F0C: D1D300B0 06C21F0E
	v_max3_f32 v176, v16, v17, v176                            // 000000003F14: D1D300B0 06C22310
	v_max3_f32 v176, v18, v19, v176                            // 000000003F1C: D1D300B0 06C22712
	v_mov_b32_e32 v177, v20                                    // 000000003F24: 7F620314
	v_max3_f32 v177, v20, v21, v177                            // 000000003F28: D1D300B1 06C62B14
	v_max3_f32 v177, v22, v23, v177                            // 000000003F30: D1D300B1 06C62F16
	v_max3_f32 v177, v24, v25, v177                            // 000000003F38: D1D300B1 06C63318
	v_max3_f32 v177, v26, v27, v177                            // 000000003F40: D1D300B1 06C6371A
	v_max3_f32 v177, v28, v29, v177                            // 000000003F48: D1D300B1 06C63B1C
	v_max3_f32 v177, v30, v31, v177                            // 000000003F50: D1D300B1 06C63F1E
	v_max3_f32 v177, v32, v33, v177                            // 000000003F58: D1D300B1 06C64320
	v_max3_f32 v177, v34, v35, v177                            // 000000003F60: D1D300B1 06C64722
	v_mov_b32_e32 v178, v36                                    // 000000003F68: 7F640324
	v_max3_f32 v178, v36, v37, v178                            // 000000003F6C: D1D300B2 06CA4B24
	v_max3_f32 v178, v38, v39, v178                            // 000000003F74: D1D300B2 06CA4F26
	v_max3_f32 v178, v40, v41, v178                            // 000000003F7C: D1D300B2 06CA5328
	v_max3_f32 v178, v42, v43, v178                            // 000000003F84: D1D300B2 06CA572A
	v_max3_f32 v178, v44, v45, v178                            // 000000003F8C: D1D300B2 06CA5B2C
	v_max3_f32 v178, v46, v47, v178                            // 000000003F94: D1D300B2 06CA5F2E
	v_max3_f32 v178, v48, v49, v178                            // 000000003F9C: D1D300B2 06CA6330
	v_max3_f32 v178, v50, v51, v178                            // 000000003FA4: D1D300B2 06CA6732
	v_mov_b32_e32 v179, v52                                    // 000000003FAC: 7F660334
	v_max3_f32 v179, v52, v53, v179                            // 000000003FB0: D1D300B3 06CE6B34
	v_max3_f32 v179, v54, v55, v179                            // 000000003FB8: D1D300B3 06CE6F36
	v_max3_f32 v179, v56, v57, v179                            // 000000003FC0: D1D300B3 06CE7338
	v_max3_f32 v179, v58, v59, v179                            // 000000003FC8: D1D300B3 06CE773A
	v_max3_f32 v179, v60, v61, v179                            // 000000003FD0: D1D300B3 06CE7B3C
	v_max3_f32 v179, v62, v63, v179                            // 000000003FD8: D1D300B3 06CE7F3E
	v_max3_f32 v179, v64, v65, v179                            // 000000003FE0: D1D300B3 06CE8340
	v_max3_f32 v179, v66, v67, v179                            // 000000003FE8: D1D300B3 06CE8742
	ds_bpermute_b32 v180, v200, v176                           // 000000003FF0: D87E0000 B400B0C8
	ds_bpermute_b32 v181, v201, v176                           // 000000003FF8: D87E0000 B500B0C9
	ds_bpermute_b32 v182, v202, v176                           // 000000004000: D87E0000 B600B0CA
	ds_bpermute_b32 v183, v200, v177                           // 000000004008: D87E0000 B700B1C8
	ds_bpermute_b32 v184, v201, v177                           // 000000004010: D87E0000 B800B1C9
	ds_bpermute_b32 v185, v202, v177                           // 000000004018: D87E0000 B900B1CA
	ds_bpermute_b32 v186, v200, v178                           // 000000004020: D87E0000 BA00B2C8
	ds_bpermute_b32 v187, v201, v178                           // 000000004028: D87E0000 BB00B2C9
	ds_bpermute_b32 v188, v202, v178                           // 000000004030: D87E0000 BC00B2CA
	ds_bpermute_b32 v189, v200, v179                           // 000000004038: D87E0000 BD00B3C8
	ds_bpermute_b32 v190, v201, v179                           // 000000004040: D87E0000 BE00B3C9
	ds_bpermute_b32 v191, v202, v179                           // 000000004048: D87E0000 BF00B3CA
	v_pk_mul_f32 v[100:101], v[160:161], v[100:101]            // 000000004050: D3B14064 1802C9A0
	v_pk_mul_f32 v[102:103], v[160:161], v[102:103]            // 000000004058: D3B14066 1802CDA0
	v_pk_mul_f32 v[104:105], v[160:161], v[104:105]            // 000000004060: D3B14068 1802D1A0
	v_pk_mul_f32 v[106:107], v[160:161], v[106:107]            // 000000004068: D3B1406A 1802D5A0
	v_pk_mul_f32 v[108:109], v[162:163], v[108:109]            // 000000004070: D3B1406C 1802D9A2
	v_pk_mul_f32 v[110:111], v[162:163], v[110:111]            // 000000004078: D3B1406E 1802DDA2
	v_pk_mul_f32 v[112:113], v[162:163], v[112:113]            // 000000004080: D3B14070 1802E1A2
	v_pk_mul_f32 v[114:115], v[162:163], v[114:115]            // 000000004088: D3B14072 1802E5A2
	v_pk_mul_f32 v[116:117], v[164:165], v[116:117]            // 000000004090: D3B14074 1802E9A4
	v_pk_mul_f32 v[118:119], v[164:165], v[118:119]            // 000000004098: D3B14076 1802EDA4
	v_pk_mul_f32 v[120:121], v[164:165], v[120:121]            // 0000000040A0: D3B14078 1802F1A4
	v_pk_mul_f32 v[122:123], v[164:165], v[122:123]            // 0000000040A8: D3B1407A 1802F5A4
	v_pk_mul_f32 v[124:125], v[166:167], v[124:125]            // 0000000040B0: D3B1407C 1802F9A6
	v_pk_mul_f32 v[126:127], v[166:167], v[126:127]            // 0000000040B8: D3B1407E 1802FDA6
	v_pk_mul_f32 v[128:129], v[166:167], v[128:129]            // 0000000040C0: D3B14080 180301A6
	v_pk_mul_f32 v[130:131], v[166:167], v[130:131]            // 0000000040C8: D3B14082 180305A6
	s_waitcnt lgkmcnt(9)                                       // 0000000040D0: BF8CC97F
	v_max3_f32 v176, v180, v181, v176                          // 0000000040D4: D1D300B0 06C36BB4
	v_max_f32_e32 v176, v182, v176                             // 0000000040DC: 176161B6
	s_waitcnt lgkmcnt(6)                                       // 0000000040E0: BF8CC67F
	v_max3_f32 v177, v183, v184, v177                          // 0000000040E4: D1D300B1 06C771B7
	v_max_f32_e32 v177, v185, v177                             // 0000000040EC: 176363B9
	s_waitcnt lgkmcnt(3)                                       // 0000000040F0: BF8CC37F
	v_max3_f32 v178, v186, v187, v178                          // 0000000040F4: D1D300B2 06CB77BA
	v_max_f32_e32 v178, v188, v178                             // 0000000040FC: 176565BC
	s_waitcnt lgkmcnt(0)                                       // 000000004100: BF8CC07F
	v_max3_f32 v179, v189, v190, v179                          // 000000004104: D1D300B3 06CF7DBD
	v_max_f32_e32 v179, v191, v179                             // 00000000410C: 176767BF
	ds_write_b128 v247, v[176:179]                             // 000000004110: D9BE0000 0000B0F7
	s_waitcnt lgkmcnt(0)                                       // 000000004118: BF8CC07F
	s_barrier                                                  // 00000000411C: BF8A0000
	ds_read_b128 v[180:183], v248                              // 000000004120: D9FE0000 B40000F8
	ds_read_b128 v[184:187], v248 offset:256                   // 000000004128: D9FE0100 B80000F8
	ds_read_b128 v[188:191], v248 offset:512                   // 000000004130: D9FE0200 BC0000F8
	ds_read_b128 v[192:195], v248 offset:768                   // 000000004138: D9FE0300 C00000F8
	v_pk_mul_f32 v[68:69], v[144:145], v[68:69]                // 000000004140: D3B14044 18028990
	v_pk_mul_f32 v[70:71], v[144:145], v[70:71]                // 000000004148: D3B14046 18028D90
	v_pk_mul_f32 v[72:73], v[144:145], v[72:73]                // 000000004150: D3B14048 18029190
	v_pk_mul_f32 v[74:75], v[144:145], v[74:75]                // 000000004158: D3B1404A 18029590
	v_pk_mul_f32 v[76:77], v[146:147], v[76:77]                // 000000004160: D3B1404C 18029992
	v_pk_mul_f32 v[78:79], v[146:147], v[78:79]                // 000000004168: D3B1404E 18029D92
	v_pk_mul_f32 v[80:81], v[146:147], v[80:81]                // 000000004170: D3B14050 1802A192
	v_pk_mul_f32 v[82:83], v[146:147], v[82:83]                // 000000004178: D3B14052 1802A592
	v_pk_mul_f32 v[84:85], v[148:149], v[84:85]                // 000000004180: D3B14054 1802A994
	v_pk_mul_f32 v[86:87], v[148:149], v[86:87]                // 000000004188: D3B14056 1802AD94
	v_pk_mul_f32 v[88:89], v[148:149], v[88:89]                // 000000004190: D3B14058 1802B194
	v_pk_mul_f32 v[90:91], v[148:149], v[90:91]                // 000000004198: D3B1405A 1802B594
	v_pk_mul_f32 v[92:93], v[150:151], v[92:93]                // 0000000041A0: D3B1405C 1802B996
	v_pk_mul_f32 v[94:95], v[150:151], v[94:95]                // 0000000041A8: D3B1405E 1802BD96
	v_pk_mul_f32 v[96:97], v[150:151], v[96:97]                // 0000000041B0: D3B14060 1802C196
	v_pk_mul_f32 v[98:99], v[150:151], v[98:99]                // 0000000041B8: D3B14062 1802C596
	s_waitcnt lgkmcnt(0)                                       // 0000000041C0: BF8CC07F
	v_max3_f32 v176, v180, v184, v176                          // 0000000041C4: D1D300B0 06C371B4
	v_max3_f32 v177, v181, v185, v177                          // 0000000041CC: D1D300B1 06C773B5
	v_max3_f32 v178, v182, v186, v178                          // 0000000041D4: D1D300B2 06CB75B6
	v_max3_f32 v179, v183, v187, v179                          // 0000000041DC: D1D300B3 06CF77B7
	v_max3_f32 v176, v188, v192, v176                          // 0000000041E4: D1D300B0 06C381BC
	v_max3_f32 v177, v189, v193, v177                          // 0000000041EC: D1D300B1 06C783BD
	v_max3_f32 v178, v190, v194, v178                          // 0000000041F4: D1D300B2 06CB85BE
	v_max3_f32 v179, v191, v195, v179                          // 0000000041FC: D1D300B3 06CF87BF
	v_max_f32_e32 v156, v176, v152                             // 000000004204: 173931B0
	v_mul_f32_e64 v196, -s46, v156                             // 000000004208: D10500C4 2003382E
	v_mov_b32_e32 v197, v196                                   // 000000004210: 7F8A03C4
	v_pk_fma_f32 v[4:5], v[4:5], s[46:47], v[196:197]          // 000000004214: D3B04004 1F105D04
	v_pk_fma_f32 v[6:7], v[6:7], s[46:47], v[196:197]          // 00000000421C: D3B04006 1F105D06
	v_exp_f32_e32 v4, v4                                       // 000000004224: 7E084104
	v_exp_f32_e32 v5, v5                                       // 000000004228: 7E0A4105
	v_exp_f32_e32 v6, v6                                       // 00000000422C: 7E0C4106
	v_exp_f32_e32 v7, v7                                       // 000000004230: 7E0E4107
	v_pk_fma_f32 v[8:9], v[8:9], s[46:47], v[196:197]          // 000000004234: D3B04008 1F105D08
	v_pk_fma_f32 v[10:11], v[10:11], s[46:47], v[196:197]      // 00000000423C: D3B0400A 1F105D0A
	v_exp_f32_e32 v8, v8                                       // 000000004244: 7E104108
	v_exp_f32_e32 v9, v9                                       // 000000004248: 7E124109
	v_exp_f32_e32 v10, v10                                     // 00000000424C: 7E14410A
	v_exp_f32_e32 v11, v11                                     // 000000004250: 7E16410B
	v_pk_fma_f32 v[12:13], v[12:13], s[46:47], v[196:197]      // 000000004254: D3B0400C 1F105D0C
	v_pk_fma_f32 v[14:15], v[14:15], s[46:47], v[196:197]      // 00000000425C: D3B0400E 1F105D0E
	v_exp_f32_e32 v12, v12                                     // 000000004264: 7E18410C
	v_exp_f32_e32 v13, v13                                     // 000000004268: 7E1A410D
	v_exp_f32_e32 v14, v14                                     // 00000000426C: 7E1C410E
	v_exp_f32_e32 v15, v15                                     // 000000004270: 7E1E410F
	v_pk_fma_f32 v[16:17], v[16:17], s[46:47], v[196:197]      // 000000004274: D3B04010 1F105D10
	v_pk_fma_f32 v[18:19], v[18:19], s[46:47], v[196:197]      // 00000000427C: D3B04012 1F105D12
	v_exp_f32_e32 v16, v16                                     // 000000004284: 7E204110
	v_exp_f32_e32 v17, v17                                     // 000000004288: 7E224111
	v_exp_f32_e32 v18, v18                                     // 00000000428C: 7E244112
	v_exp_f32_e32 v19, v19                                     // 000000004290: 7E264113
	v_max_f32_e32 v157, v177, v153                             // 000000004294: 173B33B1
	v_mul_f32_e64 v196, -s46, v157                             // 000000004298: D10500C4 20033A2E
	v_mov_b32_e32 v197, v196                                   // 0000000042A0: 7F8A03C4
	v_pk_fma_f32 v[20:21], v[20:21], s[46:47], v[196:197]      // 0000000042A4: D3B04014 1F105D14
	v_pk_fma_f32 v[22:23], v[22:23], s[46:47], v[196:197]      // 0000000042AC: D3B04016 1F105D16
	v_exp_f32_e32 v20, v20                                     // 0000000042B4: 7E284114
	v_exp_f32_e32 v21, v21                                     // 0000000042B8: 7E2A4115
	v_exp_f32_e32 v22, v22                                     // 0000000042BC: 7E2C4116
	v_exp_f32_e32 v23, v23                                     // 0000000042C0: 7E2E4117
	v_pk_fma_f32 v[24:25], v[24:25], s[46:47], v[196:197]      // 0000000042C4: D3B04018 1F105D18
	v_pk_fma_f32 v[26:27], v[26:27], s[46:47], v[196:197]      // 0000000042CC: D3B0401A 1F105D1A
	v_exp_f32_e32 v24, v24                                     // 0000000042D4: 7E304118
	v_exp_f32_e32 v25, v25                                     // 0000000042D8: 7E324119
	v_exp_f32_e32 v26, v26                                     // 0000000042DC: 7E34411A
	v_exp_f32_e32 v27, v27                                     // 0000000042E0: 7E36411B
	v_pk_fma_f32 v[28:29], v[28:29], s[46:47], v[196:197]      // 0000000042E4: D3B0401C 1F105D1C
	v_pk_fma_f32 v[30:31], v[30:31], s[46:47], v[196:197]      // 0000000042EC: D3B0401E 1F105D1E
	v_exp_f32_e32 v28, v28                                     // 0000000042F4: 7E38411C
	v_exp_f32_e32 v29, v29                                     // 0000000042F8: 7E3A411D
	v_exp_f32_e32 v30, v30                                     // 0000000042FC: 7E3C411E
	v_exp_f32_e32 v31, v31                                     // 000000004300: 7E3E411F
	v_pk_fma_f32 v[32:33], v[32:33], s[46:47], v[196:197]      // 000000004304: D3B04020 1F105D20
	v_pk_fma_f32 v[34:35], v[34:35], s[46:47], v[196:197]      // 00000000430C: D3B04022 1F105D22
	v_exp_f32_e32 v32, v32                                     // 000000004314: 7E404120
	v_exp_f32_e32 v33, v33                                     // 000000004318: 7E424121
	v_exp_f32_e32 v34, v34                                     // 00000000431C: 7E444122
	v_exp_f32_e32 v35, v35                                     // 000000004320: 7E464123
	v_max_f32_e32 v158, v178, v154                             // 000000004324: 173D35B2
	v_mul_f32_e64 v196, -s46, v158                             // 000000004328: D10500C4 20033C2E
	v_mov_b32_e32 v197, v196                                   // 000000004330: 7F8A03C4
	v_pk_fma_f32 v[36:37], v[36:37], s[46:47], v[196:197]      // 000000004334: D3B04024 1F105D24
	v_pk_fma_f32 v[38:39], v[38:39], s[46:47], v[196:197]      // 00000000433C: D3B04026 1F105D26
	v_exp_f32_e32 v36, v36                                     // 000000004344: 7E484124
	v_exp_f32_e32 v37, v37                                     // 000000004348: 7E4A4125
	v_exp_f32_e32 v38, v38                                     // 00000000434C: 7E4C4126
	v_exp_f32_e32 v39, v39                                     // 000000004350: 7E4E4127
	v_pk_fma_f32 v[40:41], v[40:41], s[46:47], v[196:197]      // 000000004354: D3B04028 1F105D28
	v_pk_fma_f32 v[42:43], v[42:43], s[46:47], v[196:197]      // 00000000435C: D3B0402A 1F105D2A
	v_exp_f32_e32 v40, v40                                     // 000000004364: 7E504128
	v_exp_f32_e32 v41, v41                                     // 000000004368: 7E524129
	v_exp_f32_e32 v42, v42                                     // 00000000436C: 7E54412A
	v_exp_f32_e32 v43, v43                                     // 000000004370: 7E56412B
	v_pk_fma_f32 v[44:45], v[44:45], s[46:47], v[196:197]      // 000000004374: D3B0402C 1F105D2C
	v_pk_fma_f32 v[46:47], v[46:47], s[46:47], v[196:197]      // 00000000437C: D3B0402E 1F105D2E
	v_exp_f32_e32 v44, v44                                     // 000000004384: 7E58412C
	v_exp_f32_e32 v45, v45                                     // 000000004388: 7E5A412D
	v_exp_f32_e32 v46, v46                                     // 00000000438C: 7E5C412E
	v_exp_f32_e32 v47, v47                                     // 000000004390: 7E5E412F
	v_pk_fma_f32 v[48:49], v[48:49], s[46:47], v[196:197]      // 000000004394: D3B04030 1F105D30
	v_pk_fma_f32 v[50:51], v[50:51], s[46:47], v[196:197]      // 00000000439C: D3B04032 1F105D32
	v_exp_f32_e32 v48, v48                                     // 0000000043A4: 7E604130
	v_exp_f32_e32 v49, v49                                     // 0000000043A8: 7E624131
	v_exp_f32_e32 v50, v50                                     // 0000000043AC: 7E644132
	v_exp_f32_e32 v51, v51                                     // 0000000043B0: 7E664133
	v_max_f32_e32 v159, v179, v155                             // 0000000043B4: 173F37B3
	v_mul_f32_e64 v196, -s46, v159                             // 0000000043B8: D10500C4 20033E2E
	v_mov_b32_e32 v197, v196                                   // 0000000043C0: 7F8A03C4
	v_pk_fma_f32 v[52:53], v[52:53], s[46:47], v[196:197]      // 0000000043C4: D3B04034 1F105D34
	v_pk_fma_f32 v[54:55], v[54:55], s[46:47], v[196:197]      // 0000000043CC: D3B04036 1F105D36
	v_exp_f32_e32 v52, v52                                     // 0000000043D4: 7E684134
	v_exp_f32_e32 v53, v53                                     // 0000000043D8: 7E6A4135
	v_exp_f32_e32 v54, v54                                     // 0000000043DC: 7E6C4136
	v_exp_f32_e32 v55, v55                                     // 0000000043E0: 7E6E4137
	v_pk_fma_f32 v[56:57], v[56:57], s[46:47], v[196:197]      // 0000000043E4: D3B04038 1F105D38
	v_pk_fma_f32 v[58:59], v[58:59], s[46:47], v[196:197]      // 0000000043EC: D3B0403A 1F105D3A
	v_exp_f32_e32 v56, v56                                     // 0000000043F4: 7E704138
	v_exp_f32_e32 v57, v57                                     // 0000000043F8: 7E724139
	v_exp_f32_e32 v58, v58                                     // 0000000043FC: 7E74413A
	v_exp_f32_e32 v59, v59                                     // 000000004400: 7E76413B
	v_pk_fma_f32 v[60:61], v[60:61], s[46:47], v[196:197]      // 000000004404: D3B0403C 1F105D3C
	v_pk_fma_f32 v[62:63], v[62:63], s[46:47], v[196:197]      // 00000000440C: D3B0403E 1F105D3E
	v_exp_f32_e32 v60, v60                                     // 000000004414: 7E78413C
	v_exp_f32_e32 v61, v61                                     // 000000004418: 7E7A413D
	v_exp_f32_e32 v62, v62                                     // 00000000441C: 7E7C413E
	v_exp_f32_e32 v63, v63                                     // 000000004420: 7E7E413F
	v_pk_fma_f32 v[64:65], v[64:65], s[46:47], v[196:197]      // 000000004424: D3B04040 1F105D40
	v_pk_fma_f32 v[66:67], v[66:67], s[46:47], v[196:197]      // 00000000442C: D3B04042 1F105D42
	v_exp_f32_e32 v64, v64                                     // 000000004434: 7E804140
	v_exp_f32_e32 v65, v65                                     // 000000004438: 7E824141
	v_exp_f32_e32 v66, v66                                     // 00000000443C: 7E844142
	v_exp_f32_e32 v67, v67                                     // 000000004440: 7E864143
	v_sub_f32_e32 v160, v152, v156                             // 000000004444: 05413998
	v_cmp_eq_u32_e64 s[98:99], v216, v152                      // 000000004448: D0CA0062 000331D8
	v_cndmask_b32_e64 v160, v160, 0, s[98:99]                  // 000000004450: D10000A0 018901A0
	v_mov_b32_e32 v152, v156                                   // 000000004458: 7F30039C
	v_mul_f32_e32 v160, s46, v160                              // 00000000445C: 0B41402E
	v_exp_f32_e32 v160, v160                                   // 000000004460: 7F4041A0
	v_sub_f32_e32 v162, v153, v157                             // 000000004464: 05453B99
	v_cmp_eq_u32_e64 s[98:99], v216, v153                      // 000000004468: D0CA0062 000333D8
	v_cndmask_b32_e64 v162, v162, 0, s[98:99]                  // 000000004470: D10000A2 018901A2
	v_mov_b32_e32 v153, v157                                   // 000000004478: 7F32039D
	v_mul_f32_e32 v162, s46, v162                              // 00000000447C: 0B45442E
	v_exp_f32_e32 v162, v162                                   // 000000004480: 7F4441A2
	v_sub_f32_e32 v164, v154, v158                             // 000000004484: 05493D9A
	v_cmp_eq_u32_e64 s[98:99], v216, v154                      // 000000004488: D0CA0062 000335D8
	v_cndmask_b32_e64 v164, v164, 0, s[98:99]                  // 000000004490: D10000A4 018901A4
	v_mov_b32_e32 v154, v158                                   // 000000004498: 7F34039E
	v_mul_f32_e32 v164, s46, v164                              // 00000000449C: 0B49482E
	v_exp_f32_e32 v164, v164                                   // 0000000044A0: 7F4841A4
	v_sub_f32_e32 v166, v155, v159                             // 0000000044A4: 054D3F9B
	v_cmp_eq_u32_e64 s[98:99], v216, v155                      // 0000000044A8: D0CA0062 000337D8
	v_cndmask_b32_e64 v166, v166, 0, s[98:99]                  // 0000000044B0: D10000A6 018901A6
	v_mov_b32_e32 v155, v159                                   // 0000000044B8: 7F36039F
	v_mul_f32_e32 v166, s46, v166                              // 0000000044BC: 0B4D4C2E
	v_exp_f32_e32 v166, v166                                   // 0000000044C0: 7F4C41A6
	v_mov_b32_e32 v161, v160                                   // 0000000044C4: 7F4203A0
	v_mov_b32_e32 v163, v162                                   // 0000000044C8: 7F4603A2
	v_mov_b32_e32 v165, v164                                   // 0000000044CC: 7F4A03A4
	v_mov_b32_e32 v167, v166                                   // 0000000044D0: 7F4E03A6
	v_mul_f32_e32 v168, v160, v168                             // 0000000044D4: 0B5151A0
	v_mov_b32_e32 v169, 0                                      // 0000000044D8: 7F520280
	v_pk_add_f32 v[168:169], v[4:5], v[168:169]                // 0000000044DC: D3B240A8 18035104
	v_pk_add_f32 v[168:169], v[6:7], v[168:169]                // 0000000044E4: D3B240A8 18035106
	v_pk_add_f32 v[168:169], v[8:9], v[168:169]                // 0000000044EC: D3B240A8 18035108
	v_pk_add_f32 v[168:169], v[10:11], v[168:169]              // 0000000044F4: D3B240A8 1803510A
	v_pk_add_f32 v[168:169], v[12:13], v[168:169]              // 0000000044FC: D3B240A8 1803510C
	v_pk_add_f32 v[168:169], v[14:15], v[168:169]              // 000000004504: D3B240A8 1803510E
	v_pk_add_f32 v[168:169], v[16:17], v[168:169]              // 00000000450C: D3B240A8 18035110
	v_pk_add_f32 v[168:169], v[18:19], v[168:169]              // 000000004514: D3B240A8 18035112
	v_add_f32_e32 v168, v169, v168                             // 00000000451C: 035151A9
	v_mul_f32_e32 v170, v162, v170                             // 000000004520: 0B5555A2
	v_mov_b32_e32 v171, 0                                      // 000000004524: 7F560280
	v_pk_add_f32 v[170:171], v[20:21], v[170:171]              // 000000004528: D3B240AA 18035514
	v_pk_add_f32 v[170:171], v[22:23], v[170:171]              // 000000004530: D3B240AA 18035516
	;; [unrolled: 1-line block ×3, first 2 shown]
	v_pk_add_f32 v[170:171], v[26:27], v[170:171]              // 000000004540: D3B240AA 1803551A
	v_pk_add_f32 v[170:171], v[28:29], v[170:171]              // 000000004548: D3B240AA 1803551C
	v_pk_add_f32 v[170:171], v[30:31], v[170:171]              // 000000004550: D3B240AA 1803551E
	v_pk_add_f32 v[170:171], v[32:33], v[170:171]              // 000000004558: D3B240AA 18035520
	v_pk_add_f32 v[170:171], v[34:35], v[170:171]              // 000000004560: D3B240AA 18035522
	v_add_f32_e32 v170, v171, v170                             // 000000004568: 035555AB
	v_mul_f32_e32 v172, v164, v172                             // 00000000456C: 0B5959A4
	v_mov_b32_e32 v173, 0                                      // 000000004570: 7F5A0280
	v_pk_add_f32 v[172:173], v[36:37], v[172:173]              // 000000004574: D3B240AC 18035924
	v_pk_add_f32 v[172:173], v[38:39], v[172:173]              // 00000000457C: D3B240AC 18035926
	v_pk_add_f32 v[172:173], v[40:41], v[172:173]              // 000000004584: D3B240AC 18035928
	v_pk_add_f32 v[172:173], v[42:43], v[172:173]              // 00000000458C: D3B240AC 1803592A
	v_pk_add_f32 v[172:173], v[44:45], v[172:173]              // 000000004594: D3B240AC 1803592C
	v_pk_add_f32 v[172:173], v[46:47], v[172:173]              // 00000000459C: D3B240AC 1803592E
	v_pk_add_f32 v[172:173], v[48:49], v[172:173]              // 0000000045A4: D3B240AC 18035930
	v_pk_add_f32 v[172:173], v[50:51], v[172:173]              // 0000000045AC: D3B240AC 18035932
	v_add_f32_e32 v172, v173, v172                             // 0000000045B4: 035959AD
	v_mul_f32_e32 v174, v166, v174                             // 0000000045B8: 0B5D5DA6
	v_mov_b32_e32 v175, 0                                      // 0000000045BC: 7F5E0280
	v_pk_add_f32 v[174:175], v[52:53], v[174:175]              // 0000000045C0: D3B240AE 18035D34
	v_pk_add_f32 v[174:175], v[54:55], v[174:175]              // 0000000045C8: D3B240AE 18035D36
	v_pk_add_f32 v[174:175], v[56:57], v[174:175]              // 0000000045D0: D3B240AE 18035D38
	v_pk_add_f32 v[174:175], v[58:59], v[174:175]              // 0000000045D8: D3B240AE 18035D3A
	v_pk_add_f32 v[174:175], v[60:61], v[174:175]              // 0000000045E0: D3B240AE 18035D3C
	v_pk_add_f32 v[174:175], v[62:63], v[174:175]              // 0000000045E8: D3B240AE 18035D3E
	v_pk_add_f32 v[174:175], v[64:65], v[174:175]              // 0000000045F0: D3B240AE 18035D40
	v_pk_add_f32 v[174:175], v[66:67], v[174:175]              // 0000000045F8: D3B240AE 18035D42
	v_add_f32_e32 v174, v175, v174                             // 000000004600: 035D5DAF
	v_mul_f32_dpp v4, v142, v4 row_newbcast:0 row_mask:0xf bank_mask:0xf// 000000004604: 0A0808FA FF01508E
	v_mul_f32_dpp v5, v142, v5 row_newbcast:1 row_mask:0xf bank_mask:0xf// 00000000460C: 0A0A0AFA FF01518E
	v_mul_f32_dpp v6, v142, v6 row_newbcast:2 row_mask:0xf bank_mask:0xf// 000000004614: 0A0C0CFA FF01528E
	v_mul_f32_dpp v7, v142, v7 row_newbcast:3 row_mask:0xf bank_mask:0xf// 00000000461C: 0A0E0EFA FF01538E
	v_mul_f32_dpp v8, v142, v8 row_newbcast:4 row_mask:0xf bank_mask:0xf// 000000004624: 0A1010FA FF01548E
	v_mul_f32_dpp v9, v142, v9 row_newbcast:5 row_mask:0xf bank_mask:0xf// 00000000462C: 0A1212FA FF01558E
	v_mul_f32_dpp v10, v142, v10 row_newbcast:6 row_mask:0xf bank_mask:0xf// 000000004634: 0A1414FA FF01568E
	v_mul_f32_dpp v11, v142, v11 row_newbcast:7 row_mask:0xf bank_mask:0xf// 00000000463C: 0A1616FA FF01578E
	v_mul_f32_dpp v12, v142, v12 row_newbcast:8 row_mask:0xf bank_mask:0xf// 000000004644: 0A1818FA FF01588E
	v_mul_f32_dpp v13, v142, v13 row_newbcast:9 row_mask:0xf bank_mask:0xf// 00000000464C: 0A1A1AFA FF01598E
	v_mul_f32_dpp v14, v142, v14 row_newbcast:10 row_mask:0xf bank_mask:0xf// 000000004654: 0A1C1CFA FF015A8E
	v_mul_f32_dpp v15, v142, v15 row_newbcast:11 row_mask:0xf bank_mask:0xf// 00000000465C: 0A1E1EFA FF015B8E
	v_mul_f32_dpp v16, v142, v16 row_newbcast:12 row_mask:0xf bank_mask:0xf// 000000004664: 0A2020FA FF015C8E
	v_mul_f32_dpp v17, v142, v17 row_newbcast:13 row_mask:0xf bank_mask:0xf// 00000000466C: 0A2222FA FF015D8E
	v_mul_f32_dpp v18, v142, v18 row_newbcast:14 row_mask:0xf bank_mask:0xf// 000000004674: 0A2424FA FF015E8E
	v_mul_f32_dpp v19, v142, v19 row_newbcast:15 row_mask:0xf bank_mask:0xf// 00000000467C: 0A2626FA FF015F8E
	v_mul_f32_dpp v20, v142, v20 row_newbcast:0 row_mask:0xf bank_mask:0xf// 000000004684: 0A2828FA FF01508E
	v_mul_f32_dpp v21, v142, v21 row_newbcast:1 row_mask:0xf bank_mask:0xf// 00000000468C: 0A2A2AFA FF01518E
	v_mul_f32_dpp v22, v142, v22 row_newbcast:2 row_mask:0xf bank_mask:0xf// 000000004694: 0A2C2CFA FF01528E
	v_mul_f32_dpp v23, v142, v23 row_newbcast:3 row_mask:0xf bank_mask:0xf// 00000000469C: 0A2E2EFA FF01538E
	v_mul_f32_dpp v24, v142, v24 row_newbcast:4 row_mask:0xf bank_mask:0xf// 0000000046A4: 0A3030FA FF01548E
	v_mul_f32_dpp v25, v142, v25 row_newbcast:5 row_mask:0xf bank_mask:0xf// 0000000046AC: 0A3232FA FF01558E
	v_mul_f32_dpp v26, v142, v26 row_newbcast:6 row_mask:0xf bank_mask:0xf// 0000000046B4: 0A3434FA FF01568E
	v_mul_f32_dpp v27, v142, v27 row_newbcast:7 row_mask:0xf bank_mask:0xf// 0000000046BC: 0A3636FA FF01578E
	v_mul_f32_dpp v28, v142, v28 row_newbcast:8 row_mask:0xf bank_mask:0xf// 0000000046C4: 0A3838FA FF01588E
	v_mul_f32_dpp v29, v142, v29 row_newbcast:9 row_mask:0xf bank_mask:0xf// 0000000046CC: 0A3A3AFA FF01598E
	v_mul_f32_dpp v30, v142, v30 row_newbcast:10 row_mask:0xf bank_mask:0xf// 0000000046D4: 0A3C3CFA FF015A8E
	v_mul_f32_dpp v31, v142, v31 row_newbcast:11 row_mask:0xf bank_mask:0xf// 0000000046DC: 0A3E3EFA FF015B8E
	v_mul_f32_dpp v32, v142, v32 row_newbcast:12 row_mask:0xf bank_mask:0xf// 0000000046E4: 0A4040FA FF015C8E
	v_mul_f32_dpp v33, v142, v33 row_newbcast:13 row_mask:0xf bank_mask:0xf// 0000000046EC: 0A4242FA FF015D8E
	v_mul_f32_dpp v34, v142, v34 row_newbcast:14 row_mask:0xf bank_mask:0xf// 0000000046F4: 0A4444FA FF015E8E
	v_mul_f32_dpp v35, v142, v35 row_newbcast:15 row_mask:0xf bank_mask:0xf// 0000000046FC: 0A4646FA FF015F8E
	v_mul_f32_dpp v36, v142, v36 row_newbcast:0 row_mask:0xf bank_mask:0xf// 000000004704: 0A4848FA FF01508E
	v_mul_f32_dpp v37, v142, v37 row_newbcast:1 row_mask:0xf bank_mask:0xf// 00000000470C: 0A4A4AFA FF01518E
	v_mul_f32_dpp v38, v142, v38 row_newbcast:2 row_mask:0xf bank_mask:0xf// 000000004714: 0A4C4CFA FF01528E
	v_mul_f32_dpp v39, v142, v39 row_newbcast:3 row_mask:0xf bank_mask:0xf// 00000000471C: 0A4E4EFA FF01538E
	v_mul_f32_dpp v40, v142, v40 row_newbcast:4 row_mask:0xf bank_mask:0xf// 000000004724: 0A5050FA FF01548E
	v_mul_f32_dpp v41, v142, v41 row_newbcast:5 row_mask:0xf bank_mask:0xf// 00000000472C: 0A5252FA FF01558E
	v_mul_f32_dpp v42, v142, v42 row_newbcast:6 row_mask:0xf bank_mask:0xf// 000000004734: 0A5454FA FF01568E
	v_mul_f32_dpp v43, v142, v43 row_newbcast:7 row_mask:0xf bank_mask:0xf// 00000000473C: 0A5656FA FF01578E
	v_mul_f32_dpp v44, v142, v44 row_newbcast:8 row_mask:0xf bank_mask:0xf// 000000004744: 0A5858FA FF01588E
	v_mul_f32_dpp v45, v142, v45 row_newbcast:9 row_mask:0xf bank_mask:0xf// 00000000474C: 0A5A5AFA FF01598E
	v_mul_f32_dpp v46, v142, v46 row_newbcast:10 row_mask:0xf bank_mask:0xf// 000000004754: 0A5C5CFA FF015A8E
	v_mul_f32_dpp v47, v142, v47 row_newbcast:11 row_mask:0xf bank_mask:0xf// 00000000475C: 0A5E5EFA FF015B8E
	v_mul_f32_dpp v48, v142, v48 row_newbcast:12 row_mask:0xf bank_mask:0xf// 000000004764: 0A6060FA FF015C8E
	v_mul_f32_dpp v49, v142, v49 row_newbcast:13 row_mask:0xf bank_mask:0xf// 00000000476C: 0A6262FA FF015D8E
	v_mul_f32_dpp v50, v142, v50 row_newbcast:14 row_mask:0xf bank_mask:0xf// 000000004774: 0A6464FA FF015E8E
	v_mul_f32_dpp v51, v142, v51 row_newbcast:15 row_mask:0xf bank_mask:0xf// 00000000477C: 0A6666FA FF015F8E
	v_mul_f32_dpp v52, v142, v52 row_newbcast:0 row_mask:0xf bank_mask:0xf// 000000004784: 0A6868FA FF01508E
	v_mul_f32_dpp v53, v142, v53 row_newbcast:1 row_mask:0xf bank_mask:0xf// 00000000478C: 0A6A6AFA FF01518E
	v_mul_f32_dpp v54, v142, v54 row_newbcast:2 row_mask:0xf bank_mask:0xf// 000000004794: 0A6C6CFA FF01528E
	v_mul_f32_dpp v55, v142, v55 row_newbcast:3 row_mask:0xf bank_mask:0xf// 00000000479C: 0A6E6EFA FF01538E
	v_mul_f32_dpp v56, v142, v56 row_newbcast:4 row_mask:0xf bank_mask:0xf// 0000000047A4: 0A7070FA FF01548E
	v_mul_f32_dpp v57, v142, v57 row_newbcast:5 row_mask:0xf bank_mask:0xf// 0000000047AC: 0A7272FA FF01558E
	v_mul_f32_dpp v58, v142, v58 row_newbcast:6 row_mask:0xf bank_mask:0xf// 0000000047B4: 0A7474FA FF01568E
	v_mul_f32_dpp v59, v142, v59 row_newbcast:7 row_mask:0xf bank_mask:0xf// 0000000047BC: 0A7676FA FF01578E
	v_mul_f32_dpp v60, v142, v60 row_newbcast:8 row_mask:0xf bank_mask:0xf// 0000000047C4: 0A7878FA FF01588E
	v_mul_f32_dpp v61, v142, v61 row_newbcast:9 row_mask:0xf bank_mask:0xf// 0000000047CC: 0A7A7AFA FF01598E
	v_mul_f32_dpp v62, v142, v62 row_newbcast:10 row_mask:0xf bank_mask:0xf// 0000000047D4: 0A7C7CFA FF015A8E
	v_mul_f32_dpp v63, v142, v63 row_newbcast:11 row_mask:0xf bank_mask:0xf// 0000000047DC: 0A7E7EFA FF015B8E
	v_mul_f32_dpp v64, v142, v64 row_newbcast:12 row_mask:0xf bank_mask:0xf// 0000000047E4: 0A8080FA FF015C8E
	v_mul_f32_dpp v65, v142, v65 row_newbcast:13 row_mask:0xf bank_mask:0xf// 0000000047EC: 0A8282FA FF015D8E
	v_mul_f32_dpp v66, v142, v66 row_newbcast:14 row_mask:0xf bank_mask:0xf// 0000000047F4: 0A8484FA FF015E8E
	v_mul_f32_dpp v67, v142, v67 row_newbcast:15 row_mask:0xf bank_mask:0xf// 0000000047FC: 0A8686FA FF015F8E
	buffer_load_dword v141, v231, s[20:23], 0 offen            // 000000004804: E0501000 80058DE7
	s_waitcnt lgkmcnt(0)                                       // 00000000480C: BF8CC07F
	s_barrier                                                  // 000000004810: BF8A0000
	buffer_load_dword v143, v232, s[24:27], 0 offen            // 000000004814: E0501000 80068FE8
	s_waitcnt lgkmcnt(0)                                       // 00000000481C: BF8CC07F
	v_sub_f32_e32 v176, v176, v152                             // 000000004820: 056131B0
	v_sub_f32_e32 v177, v177, v153                             // 000000004824: 056333B1
	v_sub_f32_e32 v178, v178, v154                             // 000000004828: 056535B2
	v_sub_f32_e32 v179, v179, v155                             // 00000000482C: 056737B3
	v_mul_f32_e32 v176, s46, v176                              // 000000004830: 0B61602E
	v_mul_f32_e32 v177, s46, v177                              // 000000004834: 0B63622E
	v_mul_f32_e32 v178, s46, v178                              // 000000004838: 0B65642E
	v_mul_f32_e32 v179, s46, v179                              // 00000000483C: 0B67662E
	v_exp_f32_e32 v176, v176                                   // 000000004840: 7F6041B0
	v_exp_f32_e32 v177, v177                                   // 000000004844: 7F6241B1
	v_exp_f32_e32 v178, v178                                   // 000000004848: 7F6441B2
	v_exp_f32_e32 v179, v179                                   // 00000000484C: 7F6641B3
	v_mul_f32_e32 v176, v142, v176                             // 000000004850: 0B61618E
	v_mul_f32_e32 v177, v142, v177                             // 000000004854: 0B63638E
	v_mul_f32_e32 v178, v142, v178                             // 000000004858: 0B65658E
	v_mul_f32_e32 v179, v142, v179                             // 00000000485C: 0B67678E
	v_add_f32_e32 v176, 0x3089705f, v176                       // 000000004860: 036160FF 3089705F
	v_add_f32_e32 v177, 0x3089705f, v177                       // 000000004868: 036362FF 3089705F
	v_add_f32_e32 v178, 0x3089705f, v178                       // 000000004870: 036564FF 3089705F
	v_add_f32_e32 v179, 0x3089705f, v179                       // 000000004878: 036766FF 3089705F
	v_rcp_f32_e32 v176, v176                                   // 000000004880: 7F6045B0
	v_rcp_f32_e32 v177, v177                                   // 000000004884: 7F6245B1
	v_rcp_f32_e32 v178, v178                                   // 000000004888: 7F6445B2
	v_rcp_f32_e32 v179, v179                                   // 00000000488C: 7F6645B3
	v_mul_f32_e32 v176, 0x43700000, v176                       // 000000004890: 0B6160FF 43700000
	v_mul_f32_e32 v177, 0x43700000, v177                       // 000000004898: 0B6362FF 43700000
	v_mul_f32_e32 v178, 0x43700000, v178                       // 0000000048A0: 0B6564FF 43700000
	v_mul_f32_e32 v179, 0x43700000, v179                       // 0000000048A8: 0B6766FF 43700000
	v_mul_f32_e32 v4, v176, v4                                 // 0000000048B0: 0A0809B0
	v_mul_f32_e32 v5, v176, v5                                 // 0000000048B4: 0A0A0BB0
	v_mul_f32_e32 v6, v176, v6                                 // 0000000048B8: 0A0C0DB0
	v_mul_f32_e32 v7, v176, v7                                 // 0000000048BC: 0A0E0FB0
	v_mul_f32_e32 v8, v176, v8                                 // 0000000048C0: 0A1011B0
	v_mul_f32_e32 v9, v176, v9                                 // 0000000048C4: 0A1213B0
	v_mul_f32_e32 v10, v176, v10                               // 0000000048C8: 0A1415B0
	v_mul_f32_e32 v11, v176, v11                               // 0000000048CC: 0A1617B0
	v_mul_f32_e32 v12, v176, v12                               // 0000000048D0: 0A1819B0
	v_mul_f32_e32 v13, v176, v13                               // 0000000048D4: 0A1A1BB0
	v_mul_f32_e32 v14, v176, v14                               // 0000000048D8: 0A1C1DB0
	v_mul_f32_e32 v15, v176, v15                               // 0000000048DC: 0A1E1FB0
	v_mul_f32_e32 v16, v176, v16                               // 0000000048E0: 0A2021B0
	v_mul_f32_e32 v17, v176, v17                               // 0000000048E4: 0A2223B0
	v_mul_f32_e32 v18, v176, v18                               // 0000000048E8: 0A2425B0
	v_mul_f32_e32 v19, v176, v19                               // 0000000048EC: 0A2627B0
	v_mul_f32_e32 v20, v177, v20                               // 0000000048F0: 0A2829B1
	v_mul_f32_e32 v21, v177, v21                               // 0000000048F4: 0A2A2BB1
	v_mul_f32_e32 v22, v177, v22                               // 0000000048F8: 0A2C2DB1
	v_mul_f32_e32 v23, v177, v23                               // 0000000048FC: 0A2E2FB1
	v_mul_f32_e32 v24, v177, v24                               // 000000004900: 0A3031B1
	v_mul_f32_e32 v25, v177, v25                               // 000000004904: 0A3233B1
	v_mul_f32_e32 v26, v177, v26                               // 000000004908: 0A3435B1
	v_mul_f32_e32 v27, v177, v27                               // 00000000490C: 0A3637B1
	v_mul_f32_e32 v28, v177, v28                               // 000000004910: 0A3839B1
	v_mul_f32_e32 v29, v177, v29                               // 000000004914: 0A3A3BB1
	v_mul_f32_e32 v30, v177, v30                               // 000000004918: 0A3C3DB1
	v_mul_f32_e32 v31, v177, v31                               // 00000000491C: 0A3E3FB1
	v_mul_f32_e32 v32, v177, v32                               // 000000004920: 0A4041B1
	v_mul_f32_e32 v33, v177, v33                               // 000000004924: 0A4243B1
	v_mul_f32_e32 v34, v177, v34                               // 000000004928: 0A4445B1
	v_mul_f32_e32 v35, v177, v35                               // 00000000492C: 0A4647B1
	v_mul_f32_e32 v36, v178, v36                               // 000000004930: 0A4849B2
	v_mul_f32_e32 v37, v178, v37                               // 000000004934: 0A4A4BB2
	v_mul_f32_e32 v38, v178, v38                               // 000000004938: 0A4C4DB2
	v_mul_f32_e32 v39, v178, v39                               // 00000000493C: 0A4E4FB2
	v_mul_f32_e32 v40, v178, v40                               // 000000004940: 0A5051B2
	v_mul_f32_e32 v41, v178, v41                               // 000000004944: 0A5253B2
	v_mul_f32_e32 v42, v178, v42                               // 000000004948: 0A5455B2
	v_mul_f32_e32 v43, v178, v43                               // 00000000494C: 0A5657B2
	v_mul_f32_e32 v44, v178, v44                               // 000000004950: 0A5859B2
	v_mul_f32_e32 v45, v178, v45                               // 000000004954: 0A5A5BB2
	v_mul_f32_e32 v46, v178, v46                               // 000000004958: 0A5C5DB2
	v_mul_f32_e32 v47, v178, v47                               // 00000000495C: 0A5E5FB2
	v_mul_f32_e32 v48, v178, v48                               // 000000004960: 0A6061B2
	v_mul_f32_e32 v49, v178, v49                               // 000000004964: 0A6263B2
	v_mul_f32_e32 v50, v178, v50                               // 000000004968: 0A6465B2
	v_mul_f32_e32 v51, v178, v51                               // 00000000496C: 0A6667B2
	v_mul_f32_e32 v52, v179, v52                               // 000000004970: 0A6869B3
	v_mul_f32_e32 v53, v179, v53                               // 000000004974: 0A6A6BB3
	v_mul_f32_e32 v54, v179, v54                               // 000000004978: 0A6C6DB3
	v_mul_f32_e32 v55, v179, v55                               // 00000000497C: 0A6E6FB3
	v_mul_f32_e32 v56, v179, v56                               // 000000004980: 0A7071B3
	v_mul_f32_e32 v57, v179, v57                               // 000000004984: 0A7273B3
	v_mul_f32_e32 v58, v179, v58                               // 000000004988: 0A7475B3
	v_mul_f32_e32 v59, v179, v59                               // 00000000498C: 0A7677B3
	v_mul_f32_e32 v60, v179, v60                               // 000000004990: 0A7879B3
	v_mul_f32_e32 v61, v179, v61                               // 000000004994: 0A7A7BB3
	v_mul_f32_e32 v62, v179, v62                               // 000000004998: 0A7C7DB3
	v_mul_f32_e32 v63, v179, v63                               // 00000000499C: 0A7E7FB3
	v_mul_f32_e32 v64, v179, v64                               // 0000000049A0: 0A8081B3
	v_mul_f32_e32 v65, v179, v65                               // 0000000049A4: 0A8283B3
	v_mul_f32_e32 v66, v179, v66                               // 0000000049A8: 0A8485B3
	v_mul_f32_e32 v67, v179, v67                               // 0000000049AC: 0A8687B3
	v_cvt_pk_fp8_f32 v4, v4, v5                                // 0000000049B0: D2A20004 00020B04
	v_cvt_pk_fp8_f32 v4, v6, v7 op_sel:[0,0,1]                 // 0000000049B8: D2A24004 00020F06
	v_cvt_pk_fp8_f32 v5, v8, v9                                // 0000000049C0: D2A20005 00021308
	v_cvt_pk_fp8_f32 v5, v10, v11 op_sel:[0,0,1]               // 0000000049C8: D2A24005 0002170A
	v_cvt_pk_fp8_f32 v6, v12, v13                              // 0000000049D0: D2A20006 00021B0C
	v_cvt_pk_fp8_f32 v6, v14, v15 op_sel:[0,0,1]               // 0000000049D8: D2A24006 00021F0E
	v_cvt_pk_fp8_f32 v7, v16, v17                              // 0000000049E0: D2A20007 00022310
	v_cvt_pk_fp8_f32 v7, v18, v19 op_sel:[0,0,1]               // 0000000049E8: D2A24007 00022712
	v_cvt_pk_fp8_f32 v8, v20, v21                              // 0000000049F0: D2A20008 00022B14
	v_cvt_pk_fp8_f32 v8, v22, v23 op_sel:[0,0,1]               // 0000000049F8: D2A24008 00022F16
	v_cvt_pk_fp8_f32 v9, v24, v25                              // 000000004A00: D2A20009 00023318
	v_cvt_pk_fp8_f32 v9, v26, v27 op_sel:[0,0,1]               // 000000004A08: D2A24009 0002371A
	v_cvt_pk_fp8_f32 v10, v28, v29                             // 000000004A10: D2A2000A 00023B1C
	v_cvt_pk_fp8_f32 v10, v30, v31 op_sel:[0,0,1]              // 000000004A18: D2A2400A 00023F1E
	v_cvt_pk_fp8_f32 v11, v32, v33                             // 000000004A20: D2A2000B 00024320
	v_cvt_pk_fp8_f32 v11, v34, v35 op_sel:[0,0,1]              // 000000004A28: D2A2400B 00024722
	v_cvt_pk_fp8_f32 v12, v36, v37                             // 000000004A30: D2A2000C 00024B24
	v_cvt_pk_fp8_f32 v12, v38, v39 op_sel:[0,0,1]              // 000000004A38: D2A2400C 00024F26
	v_cvt_pk_fp8_f32 v13, v40, v41                             // 000000004A40: D2A2000D 00025328
	v_cvt_pk_fp8_f32 v13, v42, v43 op_sel:[0,0,1]              // 000000004A48: D2A2400D 0002572A
	v_cvt_pk_fp8_f32 v14, v44, v45                             // 000000004A50: D2A2000E 00025B2C
	v_cvt_pk_fp8_f32 v14, v46, v47 op_sel:[0,0,1]              // 000000004A58: D2A2400E 00025F2E
	v_cvt_pk_fp8_f32 v15, v48, v49                             // 000000004A60: D2A2000F 00026330
	v_cvt_pk_fp8_f32 v15, v50, v51 op_sel:[0,0,1]              // 000000004A68: D2A2400F 00026732
	v_cvt_pk_fp8_f32 v16, v52, v53                             // 000000004A70: D2A20010 00026B34
	v_cvt_pk_fp8_f32 v16, v54, v55 op_sel:[0,0,1]              // 000000004A78: D2A24010 00026F36
	v_cvt_pk_fp8_f32 v17, v56, v57                             // 000000004A80: D2A20011 00027338
	v_cvt_pk_fp8_f32 v17, v58, v59 op_sel:[0,0,1]              // 000000004A88: D2A24011 0002773A
	v_cvt_pk_fp8_f32 v18, v60, v61                             // 000000004A90: D2A20012 00027B3C
	v_cvt_pk_fp8_f32 v18, v62, v63 op_sel:[0,0,1]              // 000000004A98: D2A24012 00027F3E
	v_cvt_pk_fp8_f32 v19, v64, v65                             // 000000004AA0: D2A20013 00028340
	v_cvt_pk_fp8_f32 v19, v66, v67 op_sel:[0,0,1]              // 000000004AA8: D2A24013 00028742
	ds_write_b32 v249, v4 offset:8192                          // 000000004AB0: D81A2000 000004F9
	ds_write_b32 v249, v5 offset:9216                          // 000000004AB8: D81A2400 000005F9
	ds_write_b32 v249, v6 offset:10240                         // 000000004AC0: D81A2800 000006F9
	ds_write_b32 v249, v7 offset:11264                         // 000000004AC8: D81A2C00 000007F9
	ds_write_b32 v249, v8 offset:12288                         // 000000004AD0: D81A3000 000008F9
	ds_write_b32 v249, v9 offset:13312                         // 000000004AD8: D81A3400 000009F9
	ds_write_b32 v249, v10 offset:14336                        // 000000004AE0: D81A3800 00000AF9
	ds_write_b32 v249, v11 offset:15360                        // 000000004AE8: D81A3C00 00000BF9
	ds_write_b32 v249, v12 offset:16384                        // 000000004AF0: D81A4000 00000CF9
	ds_write_b32 v249, v13 offset:17408                        // 000000004AF8: D81A4400 00000DF9
	ds_write_b32 v249, v14 offset:18432                        // 000000004B00: D81A4800 00000EF9
	ds_write_b32 v249, v15 offset:19456                        // 000000004B08: D81A4C00 00000FF9
	ds_write_b32 v249, v16 offset:20480                        // 000000004B10: D81A5000 000010F9
	ds_write_b32 v249, v17 offset:21504                        // 000000004B18: D81A5400 000011F9
	ds_write_b32 v249, v18 offset:22528                        // 000000004B20: D81A5800 000012F9
	ds_write_b32 v249, v19 offset:23552                        // 000000004B28: D81A5C00 000013F9
	v_rcp_f32_e32 v144, v176                                   // 000000004B30: 7F2045B0
	v_rcp_f32_e32 v146, v177                                   // 000000004B34: 7F2445B1
	v_rcp_f32_e32 v148, v178                                   // 000000004B38: 7F2845B2
	v_rcp_f32_e32 v150, v179                                   // 000000004B3C: 7F2C45B3
	v_mov_b32_e32 v145, v144                                   // 000000004B40: 7F220390
	v_mov_b32_e32 v147, v146                                   // 000000004B44: 7F260392
	v_mov_b32_e32 v149, v148                                   // 000000004B48: 7F2A0394
	v_mov_b32_e32 v151, v150                                   // 000000004B4C: 7F2E0396
	v_pk_add_f32 v[100:101], v[100:101], v[68:69]              // 000000004B50: D3B24064 18028964
	v_pk_add_f32 v[102:103], v[102:103], v[70:71]              // 000000004B58: D3B24066 18028D66
	v_pk_add_f32 v[104:105], v[104:105], v[72:73]              // 000000004B60: D3B24068 18029168
	v_pk_add_f32 v[106:107], v[106:107], v[74:75]              // 000000004B68: D3B2406A 1802956A
	v_pk_add_f32 v[108:109], v[108:109], v[76:77]              // 000000004B70: D3B2406C 1802996C
	v_pk_add_f32 v[110:111], v[110:111], v[78:79]              // 000000004B78: D3B2406E 18029D6E
	v_pk_add_f32 v[112:113], v[112:113], v[80:81]              // 000000004B80: D3B24070 1802A170
	v_pk_add_f32 v[114:115], v[114:115], v[82:83]              // 000000004B88: D3B24072 1802A572
	v_pk_add_f32 v[116:117], v[116:117], v[84:85]              // 000000004B90: D3B24074 1802A974
	v_pk_add_f32 v[118:119], v[118:119], v[86:87]              // 000000004B98: D3B24076 1802AD76
	v_pk_add_f32 v[120:121], v[120:121], v[88:89]              // 000000004BA0: D3B24078 1802B178
	v_pk_add_f32 v[122:123], v[122:123], v[90:91]              // 000000004BA8: D3B2407A 1802B57A
	v_pk_add_f32 v[124:125], v[124:125], v[92:93]              // 000000004BB0: D3B2407C 1802B97C
	v_pk_add_f32 v[126:127], v[126:127], v[94:95]              // 000000004BB8: D3B2407E 1802BD7E
	v_pk_add_f32 v[128:129], v[128:129], v[96:97]              // 000000004BC0: D3B24080 1802C180
	v_pk_add_f32 v[130:131], v[130:131], v[98:99]              // 000000004BC8: D3B24082 1802C582
	s_waitcnt lgkmcnt(0)                                       // 000000004BD0: BF8CC07F
	s_barrier                                                  // 000000004BD4: BF8A0000
	ds_read_b128 v[4:7], v250 offset:8192                      // 000000004BD8: D9FE2000 040000FA
	ds_read_b128 v[8:11], v250 offset:9216                     // 000000004BE0: D9FE2400 080000FA
	ds_read_b128 v[12:15], v250 offset:10240                   // 000000004BE8: D9FE2800 0C0000FA
	ds_read_b128 v[16:19], v250 offset:11264                   // 000000004BF0: D9FE2C00 100000FA
	ds_read_b128 v[20:23], v250 offset:12288                   // 000000004BF8: D9FE3000 140000FA
	ds_read_b128 v[24:27], v250 offset:13312                   // 000000004C00: D9FE3400 180000FA
	ds_read_b128 v[28:31], v250 offset:14336                   // 000000004C08: D9FE3800 1C0000FA
	ds_read_b128 v[32:35], v250 offset:15360                   // 000000004C10: D9FE3C00 200000FA
	ds_read_b128 v[36:39], v250 offset:16384                   // 000000004C18: D9FE4000 240000FA
	ds_read_b128 v[40:43], v250 offset:17408                   // 000000004C20: D9FE4400 280000FA
	ds_read_b128 v[44:47], v250 offset:18432                   // 000000004C28: D9FE4800 2C0000FA
	ds_read_b128 v[48:51], v250 offset:19456                   // 000000004C30: D9FE4C00 300000FA
	ds_read_b128 v[52:55], v250 offset:20480                   // 000000004C38: D9FE5000 340000FA
	ds_read_b128 v[56:59], v250 offset:21504                   // 000000004C40: D9FE5400 380000FA
	ds_read_b128 v[60:63], v250 offset:22528                   // 000000004C48: D9FE5800 3C0000FA
	ds_read_b128 v[64:67], v250 offset:23552                   // 000000004C50: D9FE5C00 400000FA
	s_waitcnt vmcnt(10)                                        // 000000004C58: BF8C0F7A
	s_waitcnt vmcnt(63) expcnt(7) lgkmcnt(15)                  // 000000004C5C: BF8CCF7F
	v_mfma_f32_16x16x32_fp8_fp8 v[68:71], a[96:97], v[4:5], 0  // 000000004C60: D3F30044 0A020960
	v_mfma_f32_16x16x32_fp8_fp8 v[72:75], a[112:113], v[4:5], 0// 000000004C68: D3F30048 0A020970
	v_mfma_f32_16x16x32_fp8_fp8 v[68:71], a[98:99], v[6:7], v[68:71]// 000000004C70: D3F30044 0D120D62
	buffer_load_dwordx4 a[128:131], v227, s[16:19], 0 offen    // 000000004C78: E05C1000 808480E3
	v_mfma_f32_16x16x32_fp8_fp8 v[72:75], a[114:115], v[6:7], v[72:75]// 000000004C80: D3F30048 0D220D72
	s_waitcnt lgkmcnt(14)                                      // 000000004C88: BF8CCE7F
	v_mfma_f32_16x16x32_fp8_fp8 v[68:71], a[100:101], v[8:9], v[68:71]// 000000004C8C: D3F30044 0D121164
	v_mfma_f32_16x16x32_fp8_fp8 v[72:75], a[116:117], v[8:9], v[72:75]// 000000004C94: D3F30048 0D221174
	v_mfma_f32_16x16x32_fp8_fp8 v[68:71], a[102:103], v[10:11], v[68:71]// 000000004C9C: D3F30044 0D121566
	buffer_load_dwordx4 a[132:135], v228, s[16:19], 0 offen    // 000000004CA4: E05C1000 808484E4
	v_mfma_f32_16x16x32_fp8_fp8 v[72:75], a[118:119], v[10:11], v[72:75]// 000000004CAC: D3F30048 0D221576
	s_waitcnt lgkmcnt(13)                                      // 000000004CB4: BF8CCD7F
	v_mfma_f32_16x16x32_fp8_fp8 v[68:71], a[104:105], v[12:13], v[68:71]// 000000004CB8: D3F30044 0D121968
	v_mfma_f32_16x16x32_fp8_fp8 v[72:75], a[120:121], v[12:13], v[72:75]// 000000004CC0: D3F30048 0D221978
	v_mfma_f32_16x16x32_fp8_fp8 v[68:71], a[106:107], v[14:15], v[68:71]// 000000004CC8: D3F30044 0D121D6A
	buffer_load_dwordx4 a[136:139], v229, s[16:19], 0 offen    // 000000004CD0: E05C1000 808488E5
	v_mfma_f32_16x16x32_fp8_fp8 v[72:75], a[122:123], v[14:15], v[72:75]// 000000004CD8: D3F30048 0D221D7A
	s_waitcnt lgkmcnt(12)                                      // 000000004CE0: BF8CCC7F
	v_mfma_f32_16x16x32_fp8_fp8 v[68:71], a[108:109], v[16:17], v[68:71]// 000000004CE4: D3F30044 0D12216C
	v_mfma_f32_16x16x32_fp8_fp8 v[72:75], a[124:125], v[16:17], v[72:75]// 000000004CEC: D3F30048 0D22217C
	v_mfma_f32_16x16x32_fp8_fp8 v[68:71], a[110:111], v[18:19], v[68:71]// 000000004CF4: D3F30044 0D12256E
	buffer_load_dwordx4 a[140:143], v230, s[16:19], 0 offen    // 000000004CFC: E05C1000 80848CE6
	v_mfma_f32_16x16x32_fp8_fp8 v[72:75], a[126:127], v[18:19], v[72:75]// 000000004D04: D3F30048 0D22257E
	s_waitcnt lgkmcnt(11)                                      // 000000004D0C: BF8CCB7F
	v_mfma_f32_16x16x32_fp8_fp8 v[76:79], a[96:97], v[20:21], 0// 000000004D10: D3F3004C 0A022960
	v_mfma_f32_16x16x32_fp8_fp8 v[80:83], a[112:113], v[20:21], 0// 000000004D18: D3F30050 0A022970
	v_mfma_f32_16x16x32_fp8_fp8 v[76:79], a[98:99], v[22:23], v[76:79]// 000000004D20: D3F3004C 0D322D62
	buffer_load_dwordx4 a[144:147], v227, s[16:19], 0 offen offset:1024// 000000004D28: E05C1400 808490E3
	v_mfma_f32_16x16x32_fp8_fp8 v[80:83], a[114:115], v[22:23], v[80:83]// 000000004D30: D3F30050 0D422D72
	s_waitcnt lgkmcnt(10)                                      // 000000004D38: BF8CCA7F
	v_mfma_f32_16x16x32_fp8_fp8 v[76:79], a[100:101], v[24:25], v[76:79]// 000000004D3C: D3F3004C 0D323164
	v_mfma_f32_16x16x32_fp8_fp8 v[80:83], a[116:117], v[24:25], v[80:83]// 000000004D44: D3F30050 0D423174
	v_mfma_f32_16x16x32_fp8_fp8 v[76:79], a[102:103], v[26:27], v[76:79]// 000000004D4C: D3F3004C 0D323566
	buffer_load_dwordx4 a[148:151], v228, s[16:19], 0 offen offset:1024// 000000004D54: E05C1400 808494E4
	v_mfma_f32_16x16x32_fp8_fp8 v[80:83], a[118:119], v[26:27], v[80:83]// 000000004D5C: D3F30050 0D423576
	s_waitcnt lgkmcnt(9)                                       // 000000004D64: BF8CC97F
	v_mfma_f32_16x16x32_fp8_fp8 v[76:79], a[104:105], v[28:29], v[76:79]// 000000004D68: D3F3004C 0D323968
	v_mfma_f32_16x16x32_fp8_fp8 v[80:83], a[120:121], v[28:29], v[80:83]// 000000004D70: D3F30050 0D423978
	v_mfma_f32_16x16x32_fp8_fp8 v[76:79], a[106:107], v[30:31], v[76:79]// 000000004D78: D3F3004C 0D323D6A
	buffer_load_dwordx4 a[152:155], v229, s[16:19], 0 offen offset:1024// 000000004D80: E05C1400 808498E5
	v_mfma_f32_16x16x32_fp8_fp8 v[80:83], a[122:123], v[30:31], v[80:83]// 000000004D88: D3F30050 0D423D7A
	s_waitcnt lgkmcnt(8)                                       // 000000004D90: BF8CC87F
	v_mfma_f32_16x16x32_fp8_fp8 v[76:79], a[108:109], v[32:33], v[76:79]// 000000004D94: D3F3004C 0D32416C
	v_mfma_f32_16x16x32_fp8_fp8 v[80:83], a[124:125], v[32:33], v[80:83]// 000000004D9C: D3F30050 0D42417C
	v_mfma_f32_16x16x32_fp8_fp8 v[76:79], a[110:111], v[34:35], v[76:79]// 000000004DA4: D3F3004C 0D32456E
	buffer_load_dwordx4 a[156:159], v230, s[16:19], 0 offen offset:1024// 000000004DAC: E05C1400 80849CE6
	v_mfma_f32_16x16x32_fp8_fp8 v[80:83], a[126:127], v[34:35], v[80:83]// 000000004DB4: D3F30050 0D42457E
	s_waitcnt lgkmcnt(7)                                       // 000000004DBC: BF8CC77F
	v_mfma_f32_16x16x32_fp8_fp8 v[84:87], a[96:97], v[36:37], 0// 000000004DC0: D3F30054 0A024960
	v_mfma_f32_16x16x32_fp8_fp8 v[88:91], a[112:113], v[36:37], 0// 000000004DC8: D3F30058 0A024970
	v_mfma_f32_16x16x32_fp8_fp8 v[84:87], a[98:99], v[38:39], v[84:87]// 000000004DD0: D3F30054 0D524D62
	v_mfma_f32_16x16x32_fp8_fp8 v[88:91], a[114:115], v[38:39], v[88:91]// 000000004DD8: D3F30058 0D624D72
	s_waitcnt lgkmcnt(6)                                       // 000000004DE0: BF8CC67F
	v_mfma_f32_16x16x32_fp8_fp8 v[84:87], a[100:101], v[40:41], v[84:87]// 000000004DE4: D3F30054 0D525164
	v_mfma_f32_16x16x32_fp8_fp8 v[88:91], a[116:117], v[40:41], v[88:91]// 000000004DEC: D3F30058 0D625174
	v_mfma_f32_16x16x32_fp8_fp8 v[84:87], a[102:103], v[42:43], v[84:87]// 000000004DF4: D3F30054 0D525566
	v_mfma_f32_16x16x32_fp8_fp8 v[88:91], a[118:119], v[42:43], v[88:91]// 000000004DFC: D3F30058 0D625576
	s_waitcnt lgkmcnt(5)                                       // 000000004E04: BF8CC57F
	v_mfma_f32_16x16x32_fp8_fp8 v[84:87], a[104:105], v[44:45], v[84:87]// 000000004E08: D3F30054 0D525968
	v_mfma_f32_16x16x32_fp8_fp8 v[88:91], a[120:121], v[44:45], v[88:91]// 000000004E10: D3F30058 0D625978
	v_mfma_f32_16x16x32_fp8_fp8 v[84:87], a[106:107], v[46:47], v[84:87]// 000000004E18: D3F30054 0D525D6A
	v_mfma_f32_16x16x32_fp8_fp8 v[88:91], a[122:123], v[46:47], v[88:91]// 000000004E20: D3F30058 0D625D7A
	s_waitcnt lgkmcnt(4)                                       // 000000004E28: BF8CC47F
	v_mfma_f32_16x16x32_fp8_fp8 v[84:87], a[108:109], v[48:49], v[84:87]// 000000004E2C: D3F30054 0D52616C
	v_mfma_f32_16x16x32_fp8_fp8 v[88:91], a[124:125], v[48:49], v[88:91]// 000000004E34: D3F30058 0D62617C
	v_mfma_f32_16x16x32_fp8_fp8 v[84:87], a[110:111], v[50:51], v[84:87]// 000000004E3C: D3F30054 0D52656E
	v_mfma_f32_16x16x32_fp8_fp8 v[88:91], a[126:127], v[50:51], v[88:91]// 000000004E44: D3F30058 0D62657E
	s_waitcnt lgkmcnt(3)                                       // 000000004E4C: BF8CC37F
	v_mfma_f32_16x16x32_fp8_fp8 v[92:95], a[96:97], v[52:53], 0// 000000004E50: D3F3005C 0A026960
	v_mfma_f32_16x16x32_fp8_fp8 v[96:99], a[112:113], v[52:53], 0// 000000004E58: D3F30060 0A026970
	v_mfma_f32_16x16x32_fp8_fp8 v[92:95], a[98:99], v[54:55], v[92:95]// 000000004E60: D3F3005C 0D726D62
	v_mfma_f32_16x16x32_fp8_fp8 v[96:99], a[114:115], v[54:55], v[96:99]// 000000004E68: D3F30060 0D826D72
	s_waitcnt lgkmcnt(2)                                       // 000000004E70: BF8CC27F
	v_mfma_f32_16x16x32_fp8_fp8 v[92:95], a[100:101], v[56:57], v[92:95]// 000000004E74: D3F3005C 0D727164
	v_mfma_f32_16x16x32_fp8_fp8 v[96:99], a[116:117], v[56:57], v[96:99]// 000000004E7C: D3F30060 0D827174
	v_mfma_f32_16x16x32_fp8_fp8 v[92:95], a[102:103], v[58:59], v[92:95]// 000000004E84: D3F3005C 0D727566
	v_mfma_f32_16x16x32_fp8_fp8 v[96:99], a[118:119], v[58:59], v[96:99]// 000000004E8C: D3F30060 0D827576
	s_waitcnt lgkmcnt(1)                                       // 000000004E94: BF8CC17F
	v_mfma_f32_16x16x32_fp8_fp8 v[92:95], a[104:105], v[60:61], v[92:95]// 000000004E98: D3F3005C 0D727968
	v_mfma_f32_16x16x32_fp8_fp8 v[96:99], a[120:121], v[60:61], v[96:99]// 000000004EA0: D3F30060 0D827978
	v_mfma_f32_16x16x32_fp8_fp8 v[92:95], a[106:107], v[62:63], v[92:95]// 000000004EA8: D3F3005C 0D727D6A
	v_mfma_f32_16x16x32_fp8_fp8 v[96:99], a[122:123], v[62:63], v[96:99]// 000000004EB0: D3F30060 0D827D7A
	s_waitcnt lgkmcnt(0)                                       // 000000004EB8: BF8CC07F
	v_mfma_f32_16x16x32_fp8_fp8 v[92:95], a[108:109], v[64:65], v[92:95]// 000000004EBC: D3F3005C 0D72816C
	v_mfma_f32_16x16x32_fp8_fp8 v[96:99], a[124:125], v[64:65], v[96:99]// 000000004EC4: D3F30060 0D82817C
	v_mfma_f32_16x16x32_fp8_fp8 v[92:95], a[110:111], v[66:67], v[92:95]// 000000004ECC: D3F3005C 0D72856E
	v_mfma_f32_16x16x32_fp8_fp8 v[96:99], a[126:127], v[66:67], v[96:99]// 000000004ED4: D3F30060 0D82857E
	s_addk_i32 s64, 0x100                                      // 000000004EDC: B7400100
	s_branch label_0A39                                        // 000000004EE0: BF820000

0000000000004ee4 <label_0A39>:
	s_cmp_lt_i32 s64, s63                                      // 000000004EE4: BF043F40
	s_cbranch_scc0 label_238F                                  // 000000004EE8: BF841954
	s_waitcnt vmcnt(10)                                        // 000000004EEC: BF8C0F7A
	s_lshl_b32 s68, s76, 2                                     // 000000004EF0: 8E44824C
	s_cmp_lt_u32 s76, s77                                      // 000000004EF4: BF0A4D4C
	s_cselect_b32 s68, s68, 0                                  // 000000004EF8: 85448044
	s_addk_i32 s76, 0x1                                        // 000000004EFC: B74C0001
	s_load_dword s59, s[42:43], s68                            // 000000004F00: C0000ED5 00000044
	s_waitcnt lgkmcnt(0)                                       // 000000004F08: BF8CC07F
	s_mul_i32 s69, s59, s50                                    // 000000004F0C: 9245323B
	s_mul_i32 s71, s59, s66                                    // 000000004F10: 9247423B
	s_mul_i32 s54, s78, s51                                    // 000000004F14: 9236334E
	s_add_u32 s69, s69, s54                                    // 000000004F18: 80453645
	s_mov_b32 s70, s69                                         // 000000004F1C: BEC60045
	s_mul_i32 s54, s78, 4                                      // 000000004F20: 9236844E
	s_add_u32 s71, s71, s54                                    // 000000004F24: 80473647
	s_add_u32 s12, s86, s69                                    // 000000004F28: 800C4556
	s_addc_u32 s13, s87, 0                                     // 000000004F2C: 820D8057
	s_add_u32 s16, s88, s70                                    // 000000004F30: 80104658
	s_addc_u32 s17, s89, 0                                     // 000000004F34: 82118059
	s_add_u32 s20, s90, s71                                    // 000000004F38: 8014475A
	s_addc_u32 s21, s91, 0                                     // 000000004F3C: 8215805B
	s_add_u32 s24, s92, s71                                    // 000000004F40: 8018475C
	s_addc_u32 s25, s93, 0                                     // 000000004F44: 8219805D
	v_mfma_f32_16x16x32_fp8_fp8 v[4:7], a[64:65], a[0:1], 0    // 000000004F48: D3F30004 1A020140
	v_mfma_f32_16x16x32_fp8_fp8 v[4:7], a[66:67], a[2:3], v[4:7]// 000000004F50: D3F30004 1C120542
	v_mfma_f32_16x16x32_fp8_fp8 v[4:7], a[68:69], a[4:5], v[4:7]// 000000004F58: D3F30004 1C120944
	buffer_load_dwordx4 a[32:35], v225, s[12:15], 0 offen      // 000000004F60: E05C1000 808320E1
	v_mfma_f32_16x16x32_fp8_fp8 v[4:7], a[70:71], a[6:7], v[4:7]// 000000004F68: D3F30004 1C120D46
	v_mfma_f32_16x16x32_fp8_fp8 v[8:11], a[72:73], a[0:1], 0   // 000000004F70: D3F30008 1A020148
	v_mfma_f32_16x16x32_fp8_fp8 v[8:11], a[74:75], a[2:3], v[8:11]// 000000004F78: D3F30008 1C22054A
	v_mfma_f32_16x16x32_fp8_fp8 v[8:11], a[76:77], a[4:5], v[8:11]// 000000004F80: D3F30008 1C22094C
	buffer_load_dwordx4 a[36:39], v226, s[12:15], 0 offen      // 000000004F88: E05C1000 808324E2
	v_mfma_f32_16x16x32_fp8_fp8 v[8:11], a[78:79], a[6:7], v[8:11]// 000000004F90: D3F30008 1C220D4E
	v_mfma_f32_16x16x32_fp8_fp8 v[12:15], a[80:81], a[0:1], 0  // 000000004F98: D3F3000C 1A020150
	v_mfma_f32_16x16x32_fp8_fp8 v[12:15], a[82:83], a[2:3], v[12:15]// 000000004FA0: D3F3000C 1C320552
	v_mfma_f32_16x16x32_fp8_fp8 v[12:15], a[84:85], a[4:5], v[12:15]// 000000004FA8: D3F3000C 1C320954
	buffer_load_dwordx4 a[40:43], v225, s[12:15], 0 offen offset:1024// 000000004FB0: E05C1400 808328E1
	v_mfma_f32_16x16x32_fp8_fp8 v[12:15], a[86:87], a[6:7], v[12:15]// 000000004FB8: D3F3000C 1C320D56
	v_mfma_f32_16x16x32_fp8_fp8 v[16:19], a[88:89], a[0:1], 0  // 000000004FC0: D3F30010 1A020158
	v_mfma_f32_16x16x32_fp8_fp8 v[16:19], a[90:91], a[2:3], v[16:19]// 000000004FC8: D3F30010 1C42055A
	v_mfma_f32_16x16x32_fp8_fp8 v[16:19], a[92:93], a[4:5], v[16:19]// 000000004FD0: D3F30010 1C42095C
	buffer_load_dwordx4 a[44:47], v226, s[12:15], 0 offen offset:1024// 000000004FD8: E05C1400 80832CE2
	v_mfma_f32_16x16x32_fp8_fp8 v[16:19], a[94:95], a[6:7], v[16:19]// 000000004FE0: D3F30010 1C420D5E
	v_mfma_f32_16x16x32_fp8_fp8 v[20:23], a[64:65], a[8:9], 0  // 000000004FE8: D3F30014 1A021140
	v_mfma_f32_16x16x32_fp8_fp8 v[20:23], a[66:67], a[10:11], v[20:23]// 000000004FF0: D3F30014 1C521542
	v_mfma_f32_16x16x32_fp8_fp8 v[20:23], a[68:69], a[12:13], v[20:23]// 000000004FF8: D3F30014 1C521944
	buffer_load_dwordx4 a[48:51], v225, s[12:15], 0 offen offset:2048// 000000005000: E05C1800 808330E1
	v_mfma_f32_16x16x32_fp8_fp8 v[20:23], a[70:71], a[14:15], v[20:23]// 000000005008: D3F30014 1C521D46
	v_mfma_f32_16x16x32_fp8_fp8 v[24:27], a[72:73], a[8:9], 0  // 000000005010: D3F30018 1A021148
	v_mfma_f32_16x16x32_fp8_fp8 v[24:27], a[74:75], a[10:11], v[24:27]// 000000005018: D3F30018 1C62154A
	v_mfma_f32_16x16x32_fp8_fp8 v[24:27], a[76:77], a[12:13], v[24:27]// 000000005020: D3F30018 1C62194C
	buffer_load_dwordx4 a[52:55], v226, s[12:15], 0 offen offset:2048// 000000005028: E05C1800 808334E2
	v_mfma_f32_16x16x32_fp8_fp8 v[24:27], a[78:79], a[14:15], v[24:27]// 000000005030: D3F30018 1C621D4E
	v_mfma_f32_16x16x32_fp8_fp8 v[28:31], a[80:81], a[8:9], 0  // 000000005038: D3F3001C 1A021150
	v_mfma_f32_16x16x32_fp8_fp8 v[28:31], a[82:83], a[10:11], v[28:31]// 000000005040: D3F3001C 1C721552
	v_mfma_f32_16x16x32_fp8_fp8 v[28:31], a[84:85], a[12:13], v[28:31]// 000000005048: D3F3001C 1C721954
	buffer_load_dwordx4 a[56:59], v225, s[12:15], 0 offen offset:3072// 000000005050: E05C1C00 808338E1
	v_mfma_f32_16x16x32_fp8_fp8 v[28:31], a[86:87], a[14:15], v[28:31]// 000000005058: D3F3001C 1C721D56
	v_mfma_f32_16x16x32_fp8_fp8 v[32:35], a[88:89], a[8:9], 0  // 000000005060: D3F30020 1A021158
	v_mfma_f32_16x16x32_fp8_fp8 v[32:35], a[90:91], a[10:11], v[32:35]// 000000005068: D3F30020 1C82155A
	v_mfma_f32_16x16x32_fp8_fp8 v[32:35], a[92:93], a[12:13], v[32:35]// 000000005070: D3F30020 1C82195C
	buffer_load_dwordx4 a[60:63], v226, s[12:15], 0 offen offset:3072// 000000005078: E05C1C00 80833CE2
	v_mfma_f32_16x16x32_fp8_fp8 v[32:35], a[94:95], a[14:15], v[32:35]// 000000005080: D3F30020 1C821D5E
	v_mfma_f32_16x16x32_fp8_fp8 v[36:39], a[64:65], a[16:17], 0// 000000005088: D3F30024 1A022140
	v_mfma_f32_16x16x32_fp8_fp8 v[36:39], a[66:67], a[18:19], v[36:39]// 000000005090: D3F30024 1C922542
	v_mfma_f32_16x16x32_fp8_fp8 v[36:39], a[68:69], a[20:21], v[36:39]// 000000005098: D3F30024 1C922944
	v_mfma_f32_16x16x32_fp8_fp8 v[36:39], a[70:71], a[22:23], v[36:39]// 0000000050A0: D3F30024 1C922D46
	v_mfma_f32_16x16x32_fp8_fp8 v[40:43], a[72:73], a[16:17], 0// 0000000050A8: D3F30028 1A022148
	v_mfma_f32_16x16x32_fp8_fp8 v[40:43], a[74:75], a[18:19], v[40:43]// 0000000050B0: D3F30028 1CA2254A
	v_mfma_f32_16x16x32_fp8_fp8 v[40:43], a[76:77], a[20:21], v[40:43]// 0000000050B8: D3F30028 1CA2294C
	v_mfma_f32_16x16x32_fp8_fp8 v[40:43], a[78:79], a[22:23], v[40:43]// 0000000050C0: D3F30028 1CA22D4E
	v_mfma_f32_16x16x32_fp8_fp8 v[44:47], a[80:81], a[16:17], 0// 0000000050C8: D3F3002C 1A022150
	v_mfma_f32_16x16x32_fp8_fp8 v[44:47], a[82:83], a[18:19], v[44:47]// 0000000050D0: D3F3002C 1CB22552
	v_mfma_f32_16x16x32_fp8_fp8 v[44:47], a[84:85], a[20:21], v[44:47]// 0000000050D8: D3F3002C 1CB22954
	v_mfma_f32_16x16x32_fp8_fp8 v[44:47], a[86:87], a[22:23], v[44:47]// 0000000050E0: D3F3002C 1CB22D56
	v_mfma_f32_16x16x32_fp8_fp8 v[48:51], a[88:89], a[16:17], 0// 0000000050E8: D3F30030 1A022158
	v_mfma_f32_16x16x32_fp8_fp8 v[48:51], a[90:91], a[18:19], v[48:51]// 0000000050F0: D3F30030 1CC2255A
	v_mfma_f32_16x16x32_fp8_fp8 v[48:51], a[92:93], a[20:21], v[48:51]// 0000000050F8: D3F30030 1CC2295C
	v_mfma_f32_16x16x32_fp8_fp8 v[48:51], a[94:95], a[22:23], v[48:51]// 000000005100: D3F30030 1CC22D5E
	v_mfma_f32_16x16x32_fp8_fp8 v[52:55], a[64:65], a[24:25], 0// 000000005108: D3F30034 1A023140
	v_mfma_f32_16x16x32_fp8_fp8 v[52:55], a[66:67], a[26:27], v[52:55]// 000000005110: D3F30034 1CD23542
	v_mfma_f32_16x16x32_fp8_fp8 v[52:55], a[68:69], a[28:29], v[52:55]// 000000005118: D3F30034 1CD23944
	v_mfma_f32_16x16x32_fp8_fp8 v[52:55], a[70:71], a[30:31], v[52:55]// 000000005120: D3F30034 1CD23D46
	v_mfma_f32_16x16x32_fp8_fp8 v[56:59], a[72:73], a[24:25], 0// 000000005128: D3F30038 1A023148
	v_mfma_f32_16x16x32_fp8_fp8 v[56:59], a[74:75], a[26:27], v[56:59]// 000000005130: D3F30038 1CE2354A
	v_mfma_f32_16x16x32_fp8_fp8 v[56:59], a[76:77], a[28:29], v[56:59]// 000000005138: D3F30038 1CE2394C
	v_mfma_f32_16x16x32_fp8_fp8 v[56:59], a[78:79], a[30:31], v[56:59]// 000000005140: D3F30038 1CE23D4E
	v_mfma_f32_16x16x32_fp8_fp8 v[60:63], a[80:81], a[24:25], 0// 000000005148: D3F3003C 1A023150
	v_mfma_f32_16x16x32_fp8_fp8 v[60:63], a[82:83], a[26:27], v[60:63]// 000000005150: D3F3003C 1CF23552
	v_mfma_f32_16x16x32_fp8_fp8 v[60:63], a[84:85], a[28:29], v[60:63]// 000000005158: D3F3003C 1CF23954
	v_mfma_f32_16x16x32_fp8_fp8 v[60:63], a[86:87], a[30:31], v[60:63]// 000000005160: D3F3003C 1CF23D56
	v_mfma_f32_16x16x32_fp8_fp8 v[64:67], a[88:89], a[24:25], 0// 000000005168: D3F30040 1A023158
	v_mfma_f32_16x16x32_fp8_fp8 v[64:67], a[90:91], a[26:27], v[64:67]// 000000005170: D3F30040 1D02355A
	v_mfma_f32_16x16x32_fp8_fp8 v[64:67], a[92:93], a[28:29], v[64:67]// 000000005178: D3F30040 1D02395C
	v_mfma_f32_16x16x32_fp8_fp8 v[64:67], a[94:95], a[30:31], v[64:67]// 000000005180: D3F30040 1D023D5E
	s_waitcnt vmcnt(16)                                        // 000000005188: BF8C4F70
	v_pk_mul_f32 v[4:5], v[132:133], v[4:5]                    // 00000000518C: D3B14004 18020984
	v_pk_mul_f32 v[6:7], v[132:133], v[6:7]                    // 000000005194: D3B14006 18020D84
	v_mul_f32_dpp v4, v141, v4 row_newbcast:0 row_mask:0xf bank_mask:0xf// 00000000519C: 0A0808FA FF01508D
	v_mul_f32_dpp v5, v141, v5 row_newbcast:1 row_mask:0xf bank_mask:0xf// 0000000051A4: 0A0A0AFA FF01518D
	v_mul_f32_dpp v6, v141, v6 row_newbcast:2 row_mask:0xf bank_mask:0xf// 0000000051AC: 0A0C0CFA FF01528D
	v_mul_f32_dpp v7, v141, v7 row_newbcast:3 row_mask:0xf bank_mask:0xf// 0000000051B4: 0A0E0EFA FF01538D
	v_pk_mul_f32 v[8:9], v[132:133], v[8:9]                    // 0000000051BC: D3B14008 18021184
	v_pk_mul_f32 v[10:11], v[132:133], v[10:11]                // 0000000051C4: D3B1400A 18021584
	v_mul_f32_dpp v8, v141, v8 row_newbcast:4 row_mask:0xf bank_mask:0xf// 0000000051CC: 0A1010FA FF01548D
	v_mul_f32_dpp v9, v141, v9 row_newbcast:5 row_mask:0xf bank_mask:0xf// 0000000051D4: 0A1212FA FF01558D
	v_mul_f32_dpp v10, v141, v10 row_newbcast:6 row_mask:0xf bank_mask:0xf// 0000000051DC: 0A1414FA FF01568D
	v_mul_f32_dpp v11, v141, v11 row_newbcast:7 row_mask:0xf bank_mask:0xf// 0000000051E4: 0A1616FA FF01578D
	v_pk_mul_f32 v[12:13], v[132:133], v[12:13]                // 0000000051EC: D3B1400C 18021984
	v_pk_mul_f32 v[14:15], v[132:133], v[14:15]                // 0000000051F4: D3B1400E 18021D84
	v_mul_f32_dpp v12, v141, v12 row_newbcast:8 row_mask:0xf bank_mask:0xf// 0000000051FC: 0A1818FA FF01588D
	v_mul_f32_dpp v13, v141, v13 row_newbcast:9 row_mask:0xf bank_mask:0xf// 000000005204: 0A1A1AFA FF01598D
	v_mul_f32_dpp v14, v141, v14 row_newbcast:10 row_mask:0xf bank_mask:0xf// 00000000520C: 0A1C1CFA FF015A8D
	v_mul_f32_dpp v15, v141, v15 row_newbcast:11 row_mask:0xf bank_mask:0xf// 000000005214: 0A1E1EFA FF015B8D
	v_pk_mul_f32 v[16:17], v[132:133], v[16:17]                // 00000000521C: D3B14010 18022184
	v_pk_mul_f32 v[18:19], v[132:133], v[18:19]                // 000000005224: D3B14012 18022584
	v_mul_f32_dpp v16, v141, v16 row_newbcast:12 row_mask:0xf bank_mask:0xf// 00000000522C: 0A2020FA FF015C8D
	v_mul_f32_dpp v17, v141, v17 row_newbcast:13 row_mask:0xf bank_mask:0xf// 000000005234: 0A2222FA FF015D8D
	v_mul_f32_dpp v18, v141, v18 row_newbcast:14 row_mask:0xf bank_mask:0xf// 00000000523C: 0A2424FA FF015E8D
	v_mul_f32_dpp v19, v141, v19 row_newbcast:15 row_mask:0xf bank_mask:0xf// 000000005244: 0A2626FA FF015F8D
	v_pk_mul_f32 v[20:21], v[134:135], v[20:21]                // 00000000524C: D3B14014 18022986
	v_pk_mul_f32 v[22:23], v[134:135], v[22:23]                // 000000005254: D3B14016 18022D86
	v_mul_f32_dpp v20, v141, v20 row_newbcast:0 row_mask:0xf bank_mask:0xf// 00000000525C: 0A2828FA FF01508D
	v_mul_f32_dpp v21, v141, v21 row_newbcast:1 row_mask:0xf bank_mask:0xf// 000000005264: 0A2A2AFA FF01518D
	v_mul_f32_dpp v22, v141, v22 row_newbcast:2 row_mask:0xf bank_mask:0xf// 00000000526C: 0A2C2CFA FF01528D
	v_mul_f32_dpp v23, v141, v23 row_newbcast:3 row_mask:0xf bank_mask:0xf// 000000005274: 0A2E2EFA FF01538D
	v_pk_mul_f32 v[24:25], v[134:135], v[24:25]                // 00000000527C: D3B14018 18023186
	v_pk_mul_f32 v[26:27], v[134:135], v[26:27]                // 000000005284: D3B1401A 18023586
	v_mul_f32_dpp v24, v141, v24 row_newbcast:4 row_mask:0xf bank_mask:0xf// 00000000528C: 0A3030FA FF01548D
	v_mul_f32_dpp v25, v141, v25 row_newbcast:5 row_mask:0xf bank_mask:0xf// 000000005294: 0A3232FA FF01558D
	v_mul_f32_dpp v26, v141, v26 row_newbcast:6 row_mask:0xf bank_mask:0xf// 00000000529C: 0A3434FA FF01568D
	v_mul_f32_dpp v27, v141, v27 row_newbcast:7 row_mask:0xf bank_mask:0xf// 0000000052A4: 0A3636FA FF01578D
	v_pk_mul_f32 v[28:29], v[134:135], v[28:29]                // 0000000052AC: D3B1401C 18023986
	v_pk_mul_f32 v[30:31], v[134:135], v[30:31]                // 0000000052B4: D3B1401E 18023D86
	v_mul_f32_dpp v28, v141, v28 row_newbcast:8 row_mask:0xf bank_mask:0xf// 0000000052BC: 0A3838FA FF01588D
	v_mul_f32_dpp v29, v141, v29 row_newbcast:9 row_mask:0xf bank_mask:0xf// 0000000052C4: 0A3A3AFA FF01598D
	v_mul_f32_dpp v30, v141, v30 row_newbcast:10 row_mask:0xf bank_mask:0xf// 0000000052CC: 0A3C3CFA FF015A8D
	v_mul_f32_dpp v31, v141, v31 row_newbcast:11 row_mask:0xf bank_mask:0xf// 0000000052D4: 0A3E3EFA FF015B8D
	v_pk_mul_f32 v[32:33], v[134:135], v[32:33]                // 0000000052DC: D3B14020 18024186
	v_pk_mul_f32 v[34:35], v[134:135], v[34:35]                // 0000000052E4: D3B14022 18024586
	v_mul_f32_dpp v32, v141, v32 row_newbcast:12 row_mask:0xf bank_mask:0xf// 0000000052EC: 0A4040FA FF015C8D
	v_mul_f32_dpp v33, v141, v33 row_newbcast:13 row_mask:0xf bank_mask:0xf// 0000000052F4: 0A4242FA FF015D8D
	v_mul_f32_dpp v34, v141, v34 row_newbcast:14 row_mask:0xf bank_mask:0xf// 0000000052FC: 0A4444FA FF015E8D
	v_mul_f32_dpp v35, v141, v35 row_newbcast:15 row_mask:0xf bank_mask:0xf// 000000005304: 0A4646FA FF015F8D
	v_pk_mul_f32 v[36:37], v[136:137], v[36:37]                // 00000000530C: D3B14024 18024988
	v_pk_mul_f32 v[38:39], v[136:137], v[38:39]                // 000000005314: D3B14026 18024D88
	v_mul_f32_dpp v36, v141, v36 row_newbcast:0 row_mask:0xf bank_mask:0xf// 00000000531C: 0A4848FA FF01508D
	v_mul_f32_dpp v37, v141, v37 row_newbcast:1 row_mask:0xf bank_mask:0xf// 000000005324: 0A4A4AFA FF01518D
	v_mul_f32_dpp v38, v141, v38 row_newbcast:2 row_mask:0xf bank_mask:0xf// 00000000532C: 0A4C4CFA FF01528D
	v_mul_f32_dpp v39, v141, v39 row_newbcast:3 row_mask:0xf bank_mask:0xf// 000000005334: 0A4E4EFA FF01538D
	v_pk_mul_f32 v[40:41], v[136:137], v[40:41]                // 00000000533C: D3B14028 18025188
	v_pk_mul_f32 v[42:43], v[136:137], v[42:43]                // 000000005344: D3B1402A 18025588
	v_mul_f32_dpp v40, v141, v40 row_newbcast:4 row_mask:0xf bank_mask:0xf// 00000000534C: 0A5050FA FF01548D
	v_mul_f32_dpp v41, v141, v41 row_newbcast:5 row_mask:0xf bank_mask:0xf// 000000005354: 0A5252FA FF01558D
	v_mul_f32_dpp v42, v141, v42 row_newbcast:6 row_mask:0xf bank_mask:0xf// 00000000535C: 0A5454FA FF01568D
	v_mul_f32_dpp v43, v141, v43 row_newbcast:7 row_mask:0xf bank_mask:0xf// 000000005364: 0A5656FA FF01578D
	v_pk_mul_f32 v[44:45], v[136:137], v[44:45]                // 00000000536C: D3B1402C 18025988
	v_pk_mul_f32 v[46:47], v[136:137], v[46:47]                // 000000005374: D3B1402E 18025D88
	v_mul_f32_dpp v44, v141, v44 row_newbcast:8 row_mask:0xf bank_mask:0xf// 00000000537C: 0A5858FA FF01588D
	v_mul_f32_dpp v45, v141, v45 row_newbcast:9 row_mask:0xf bank_mask:0xf// 000000005384: 0A5A5AFA FF01598D
	v_mul_f32_dpp v46, v141, v46 row_newbcast:10 row_mask:0xf bank_mask:0xf// 00000000538C: 0A5C5CFA FF015A8D
	v_mul_f32_dpp v47, v141, v47 row_newbcast:11 row_mask:0xf bank_mask:0xf// 000000005394: 0A5E5EFA FF015B8D
	v_pk_mul_f32 v[48:49], v[136:137], v[48:49]                // 00000000539C: D3B14030 18026188
	v_pk_mul_f32 v[50:51], v[136:137], v[50:51]                // 0000000053A4: D3B14032 18026588
	v_mul_f32_dpp v48, v141, v48 row_newbcast:12 row_mask:0xf bank_mask:0xf// 0000000053AC: 0A6060FA FF015C8D
	v_mul_f32_dpp v49, v141, v49 row_newbcast:13 row_mask:0xf bank_mask:0xf// 0000000053B4: 0A6262FA FF015D8D
	v_mul_f32_dpp v50, v141, v50 row_newbcast:14 row_mask:0xf bank_mask:0xf// 0000000053BC: 0A6464FA FF015E8D
	v_mul_f32_dpp v51, v141, v51 row_newbcast:15 row_mask:0xf bank_mask:0xf// 0000000053C4: 0A6666FA FF015F8D
	v_pk_mul_f32 v[52:53], v[138:139], v[52:53]                // 0000000053CC: D3B14034 1802698A
	v_pk_mul_f32 v[54:55], v[138:139], v[54:55]                // 0000000053D4: D3B14036 18026D8A
	v_mul_f32_dpp v52, v141, v52 row_newbcast:0 row_mask:0xf bank_mask:0xf// 0000000053DC: 0A6868FA FF01508D
	v_mul_f32_dpp v53, v141, v53 row_newbcast:1 row_mask:0xf bank_mask:0xf// 0000000053E4: 0A6A6AFA FF01518D
	v_mul_f32_dpp v54, v141, v54 row_newbcast:2 row_mask:0xf bank_mask:0xf// 0000000053EC: 0A6C6CFA FF01528D
	v_mul_f32_dpp v55, v141, v55 row_newbcast:3 row_mask:0xf bank_mask:0xf// 0000000053F4: 0A6E6EFA FF01538D
	v_pk_mul_f32 v[56:57], v[138:139], v[56:57]                // 0000000053FC: D3B14038 1802718A
	v_pk_mul_f32 v[58:59], v[138:139], v[58:59]                // 000000005404: D3B1403A 1802758A
	v_mul_f32_dpp v56, v141, v56 row_newbcast:4 row_mask:0xf bank_mask:0xf// 00000000540C: 0A7070FA FF01548D
	v_mul_f32_dpp v57, v141, v57 row_newbcast:5 row_mask:0xf bank_mask:0xf// 000000005414: 0A7272FA FF01558D
	v_mul_f32_dpp v58, v141, v58 row_newbcast:6 row_mask:0xf bank_mask:0xf// 00000000541C: 0A7474FA FF01568D
	v_mul_f32_dpp v59, v141, v59 row_newbcast:7 row_mask:0xf bank_mask:0xf// 000000005424: 0A7676FA FF01578D
	v_pk_mul_f32 v[60:61], v[138:139], v[60:61]                // 00000000542C: D3B1403C 1802798A
	v_pk_mul_f32 v[62:63], v[138:139], v[62:63]                // 000000005434: D3B1403E 18027D8A
	v_mul_f32_dpp v60, v141, v60 row_newbcast:8 row_mask:0xf bank_mask:0xf// 00000000543C: 0A7878FA FF01588D
	v_mul_f32_dpp v61, v141, v61 row_newbcast:9 row_mask:0xf bank_mask:0xf// 000000005444: 0A7A7AFA FF01598D
	v_mul_f32_dpp v62, v141, v62 row_newbcast:10 row_mask:0xf bank_mask:0xf// 00000000544C: 0A7C7CFA FF015A8D
	v_mul_f32_dpp v63, v141, v63 row_newbcast:11 row_mask:0xf bank_mask:0xf// 000000005454: 0A7E7EFA FF015B8D
	v_pk_mul_f32 v[64:65], v[138:139], v[64:65]                // 00000000545C: D3B14040 1802818A
	v_pk_mul_f32 v[66:67], v[138:139], v[66:67]                // 000000005464: D3B14042 1802858A
	v_mul_f32_dpp v64, v141, v64 row_newbcast:12 row_mask:0xf bank_mask:0xf// 00000000546C: 0A8080FA FF015C8D
	v_mul_f32_dpp v65, v141, v65 row_newbcast:13 row_mask:0xf bank_mask:0xf// 000000005474: 0A8282FA FF015D8D
	v_mul_f32_dpp v66, v141, v66 row_newbcast:14 row_mask:0xf bank_mask:0xf// 00000000547C: 0A8484FA FF015E8D
	v_mul_f32_dpp v67, v141, v67 row_newbcast:15 row_mask:0xf bank_mask:0xf// 000000005484: 0A8686FA FF015F8D
	v_mov_b32_e32 v176, v4                                     // 00000000548C: 7F600304
	v_max3_f32 v176, v4, v5, v176                              // 000000005490: D1D300B0 06C20B04
	v_max3_f32 v176, v6, v7, v176                              // 000000005498: D1D300B0 06C20F06
	v_max3_f32 v176, v8, v9, v176                              // 0000000054A0: D1D300B0 06C21308
	v_max3_f32 v176, v10, v11, v176                            // 0000000054A8: D1D300B0 06C2170A
	v_max3_f32 v176, v12, v13, v176                            // 0000000054B0: D1D300B0 06C21B0C
	v_max3_f32 v176, v14, v15, v176                            // 0000000054B8: D1D300B0 06C21F0E
	v_max3_f32 v176, v16, v17, v176                            // 0000000054C0: D1D300B0 06C22310
	v_max3_f32 v176, v18, v19, v176                            // 0000000054C8: D1D300B0 06C22712
	v_mov_b32_e32 v177, v20                                    // 0000000054D0: 7F620314
	v_max3_f32 v177, v20, v21, v177                            // 0000000054D4: D1D300B1 06C62B14
	v_max3_f32 v177, v22, v23, v177                            // 0000000054DC: D1D300B1 06C62F16
	v_max3_f32 v177, v24, v25, v177                            // 0000000054E4: D1D300B1 06C63318
	v_max3_f32 v177, v26, v27, v177                            // 0000000054EC: D1D300B1 06C6371A
	v_max3_f32 v177, v28, v29, v177                            // 0000000054F4: D1D300B1 06C63B1C
	v_max3_f32 v177, v30, v31, v177                            // 0000000054FC: D1D300B1 06C63F1E
	v_max3_f32 v177, v32, v33, v177                            // 000000005504: D1D300B1 06C64320
	v_max3_f32 v177, v34, v35, v177                            // 00000000550C: D1D300B1 06C64722
	v_mov_b32_e32 v178, v36                                    // 000000005514: 7F640324
	v_max3_f32 v178, v36, v37, v178                            // 000000005518: D1D300B2 06CA4B24
	v_max3_f32 v178, v38, v39, v178                            // 000000005520: D1D300B2 06CA4F26
	v_max3_f32 v178, v40, v41, v178                            // 000000005528: D1D300B2 06CA5328
	v_max3_f32 v178, v42, v43, v178                            // 000000005530: D1D300B2 06CA572A
	v_max3_f32 v178, v44, v45, v178                            // 000000005538: D1D300B2 06CA5B2C
	v_max3_f32 v178, v46, v47, v178                            // 000000005540: D1D300B2 06CA5F2E
	v_max3_f32 v178, v48, v49, v178                            // 000000005548: D1D300B2 06CA6330
	v_max3_f32 v178, v50, v51, v178                            // 000000005550: D1D300B2 06CA6732
	v_mov_b32_e32 v179, v52                                    // 000000005558: 7F660334
	v_max3_f32 v179, v52, v53, v179                            // 00000000555C: D1D300B3 06CE6B34
	v_max3_f32 v179, v54, v55, v179                            // 000000005564: D1D300B3 06CE6F36
	v_max3_f32 v179, v56, v57, v179                            // 00000000556C: D1D300B3 06CE7338
	v_max3_f32 v179, v58, v59, v179                            // 000000005574: D1D300B3 06CE773A
	v_max3_f32 v179, v60, v61, v179                            // 00000000557C: D1D300B3 06CE7B3C
	v_max3_f32 v179, v62, v63, v179                            // 000000005584: D1D300B3 06CE7F3E
	v_max3_f32 v179, v64, v65, v179                            // 00000000558C: D1D300B3 06CE8340
	v_max3_f32 v179, v66, v67, v179                            // 000000005594: D1D300B3 06CE8742
	ds_bpermute_b32 v180, v200, v176                           // 00000000559C: D87E0000 B400B0C8
	ds_bpermute_b32 v181, v201, v176                           // 0000000055A4: D87E0000 B500B0C9
	ds_bpermute_b32 v182, v202, v176                           // 0000000055AC: D87E0000 B600B0CA
	ds_bpermute_b32 v183, v200, v177                           // 0000000055B4: D87E0000 B700B1C8
	ds_bpermute_b32 v184, v201, v177                           // 0000000055BC: D87E0000 B800B1C9
	ds_bpermute_b32 v185, v202, v177                           // 0000000055C4: D87E0000 B900B1CA
	ds_bpermute_b32 v186, v200, v178                           // 0000000055CC: D87E0000 BA00B2C8
	ds_bpermute_b32 v187, v201, v178                           // 0000000055D4: D87E0000 BB00B2C9
	ds_bpermute_b32 v188, v202, v178                           // 0000000055DC: D87E0000 BC00B2CA
	ds_bpermute_b32 v189, v200, v179                           // 0000000055E4: D87E0000 BD00B3C8
	ds_bpermute_b32 v190, v201, v179                           // 0000000055EC: D87E0000 BE00B3C9
	ds_bpermute_b32 v191, v202, v179                           // 0000000055F4: D87E0000 BF00B3CA
	v_pk_mul_f32 v[100:101], v[160:161], v[100:101]            // 0000000055FC: D3B14064 1802C9A0
	v_pk_mul_f32 v[102:103], v[160:161], v[102:103]            // 000000005604: D3B14066 1802CDA0
	v_pk_mul_f32 v[104:105], v[160:161], v[104:105]            // 00000000560C: D3B14068 1802D1A0
	v_pk_mul_f32 v[106:107], v[160:161], v[106:107]            // 000000005614: D3B1406A 1802D5A0
	v_pk_mul_f32 v[108:109], v[162:163], v[108:109]            // 00000000561C: D3B1406C 1802D9A2
	v_pk_mul_f32 v[110:111], v[162:163], v[110:111]            // 000000005624: D3B1406E 1802DDA2
	v_pk_mul_f32 v[112:113], v[162:163], v[112:113]            // 00000000562C: D3B14070 1802E1A2
	v_pk_mul_f32 v[114:115], v[162:163], v[114:115]            // 000000005634: D3B14072 1802E5A2
	v_pk_mul_f32 v[116:117], v[164:165], v[116:117]            // 00000000563C: D3B14074 1802E9A4
	v_pk_mul_f32 v[118:119], v[164:165], v[118:119]            // 000000005644: D3B14076 1802EDA4
	v_pk_mul_f32 v[120:121], v[164:165], v[120:121]            // 00000000564C: D3B14078 1802F1A4
	v_pk_mul_f32 v[122:123], v[164:165], v[122:123]            // 000000005654: D3B1407A 1802F5A4
	v_pk_mul_f32 v[124:125], v[166:167], v[124:125]            // 00000000565C: D3B1407C 1802F9A6
	v_pk_mul_f32 v[126:127], v[166:167], v[126:127]            // 000000005664: D3B1407E 1802FDA6
	v_pk_mul_f32 v[128:129], v[166:167], v[128:129]            // 00000000566C: D3B14080 180301A6
	v_pk_mul_f32 v[130:131], v[166:167], v[130:131]            // 000000005674: D3B14082 180305A6
	s_waitcnt lgkmcnt(9)                                       // 00000000567C: BF8CC97F
	v_max3_f32 v176, v180, v181, v176                          // 000000005680: D1D300B0 06C36BB4
	v_max_f32_e32 v176, v182, v176                             // 000000005688: 176161B6
	s_waitcnt lgkmcnt(6)                                       // 00000000568C: BF8CC67F
	v_max3_f32 v177, v183, v184, v177                          // 000000005690: D1D300B1 06C771B7
	v_max_f32_e32 v177, v185, v177                             // 000000005698: 176363B9
	s_waitcnt lgkmcnt(3)                                       // 00000000569C: BF8CC37F
	v_max3_f32 v178, v186, v187, v178                          // 0000000056A0: D1D300B2 06CB77BA
	v_max_f32_e32 v178, v188, v178                             // 0000000056A8: 176565BC
	s_waitcnt lgkmcnt(0)                                       // 0000000056AC: BF8CC07F
	v_max3_f32 v179, v189, v190, v179                          // 0000000056B0: D1D300B3 06CF7DBD
	v_max_f32_e32 v179, v191, v179                             // 0000000056B8: 176767BF
	ds_write_b128 v247, v[176:179]                             // 0000000056BC: D9BE0000 0000B0F7
	s_waitcnt lgkmcnt(0)                                       // 0000000056C4: BF8CC07F
	s_barrier                                                  // 0000000056C8: BF8A0000
	ds_read_b128 v[180:183], v248                              // 0000000056CC: D9FE0000 B40000F8
	ds_read_b128 v[184:187], v248 offset:256                   // 0000000056D4: D9FE0100 B80000F8
	ds_read_b128 v[188:191], v248 offset:512                   // 0000000056DC: D9FE0200 BC0000F8
	ds_read_b128 v[192:195], v248 offset:768                   // 0000000056E4: D9FE0300 C00000F8
	v_pk_mul_f32 v[68:69], v[144:145], v[68:69]                // 0000000056EC: D3B14044 18028990
	v_pk_mul_f32 v[70:71], v[144:145], v[70:71]                // 0000000056F4: D3B14046 18028D90
	v_pk_mul_f32 v[72:73], v[144:145], v[72:73]                // 0000000056FC: D3B14048 18029190
	v_pk_mul_f32 v[74:75], v[144:145], v[74:75]                // 000000005704: D3B1404A 18029590
	v_pk_mul_f32 v[76:77], v[146:147], v[76:77]                // 00000000570C: D3B1404C 18029992
	v_pk_mul_f32 v[78:79], v[146:147], v[78:79]                // 000000005714: D3B1404E 18029D92
	v_pk_mul_f32 v[80:81], v[146:147], v[80:81]                // 00000000571C: D3B14050 1802A192
	v_pk_mul_f32 v[82:83], v[146:147], v[82:83]                // 000000005724: D3B14052 1802A592
	v_pk_mul_f32 v[84:85], v[148:149], v[84:85]                // 00000000572C: D3B14054 1802A994
	v_pk_mul_f32 v[86:87], v[148:149], v[86:87]                // 000000005734: D3B14056 1802AD94
	v_pk_mul_f32 v[88:89], v[148:149], v[88:89]                // 00000000573C: D3B14058 1802B194
	v_pk_mul_f32 v[90:91], v[148:149], v[90:91]                // 000000005744: D3B1405A 1802B594
	v_pk_mul_f32 v[92:93], v[150:151], v[92:93]                // 00000000574C: D3B1405C 1802B996
	v_pk_mul_f32 v[94:95], v[150:151], v[94:95]                // 000000005754: D3B1405E 1802BD96
	v_pk_mul_f32 v[96:97], v[150:151], v[96:97]                // 00000000575C: D3B14060 1802C196
	v_pk_mul_f32 v[98:99], v[150:151], v[98:99]                // 000000005764: D3B14062 1802C596
	s_waitcnt lgkmcnt(0)                                       // 00000000576C: BF8CC07F
	v_max3_f32 v176, v180, v184, v176                          // 000000005770: D1D300B0 06C371B4
	v_max3_f32 v177, v181, v185, v177                          // 000000005778: D1D300B1 06C773B5
	v_max3_f32 v178, v182, v186, v178                          // 000000005780: D1D300B2 06CB75B6
	v_max3_f32 v179, v183, v187, v179                          // 000000005788: D1D300B3 06CF77B7
	v_max3_f32 v176, v188, v192, v176                          // 000000005790: D1D300B0 06C381BC
	v_max3_f32 v177, v189, v193, v177                          // 000000005798: D1D300B1 06C783BD
	v_max3_f32 v178, v190, v194, v178                          // 0000000057A0: D1D300B2 06CB85BE
	v_max3_f32 v179, v191, v195, v179                          // 0000000057A8: D1D300B3 06CF87BF
	v_max_f32_e32 v156, v176, v152                             // 0000000057B0: 173931B0
	v_mul_f32_e64 v196, -s46, v156                             // 0000000057B4: D10500C4 2003382E
	v_mov_b32_e32 v197, v196                                   // 0000000057BC: 7F8A03C4
	v_pk_fma_f32 v[4:5], v[4:5], s[46:47], v[196:197]          // 0000000057C0: D3B04004 1F105D04
	v_pk_fma_f32 v[6:7], v[6:7], s[46:47], v[196:197]          // 0000000057C8: D3B04006 1F105D06
	v_exp_f32_e32 v4, v4                                       // 0000000057D0: 7E084104
	v_exp_f32_e32 v5, v5                                       // 0000000057D4: 7E0A4105
	v_exp_f32_e32 v6, v6                                       // 0000000057D8: 7E0C4106
	v_exp_f32_e32 v7, v7                                       // 0000000057DC: 7E0E4107
	v_pk_fma_f32 v[8:9], v[8:9], s[46:47], v[196:197]          // 0000000057E0: D3B04008 1F105D08
	v_pk_fma_f32 v[10:11], v[10:11], s[46:47], v[196:197]      // 0000000057E8: D3B0400A 1F105D0A
	v_exp_f32_e32 v8, v8                                       // 0000000057F0: 7E104108
	v_exp_f32_e32 v9, v9                                       // 0000000057F4: 7E124109
	v_exp_f32_e32 v10, v10                                     // 0000000057F8: 7E14410A
	v_exp_f32_e32 v11, v11                                     // 0000000057FC: 7E16410B
	v_pk_fma_f32 v[12:13], v[12:13], s[46:47], v[196:197]      // 000000005800: D3B0400C 1F105D0C
	v_pk_fma_f32 v[14:15], v[14:15], s[46:47], v[196:197]      // 000000005808: D3B0400E 1F105D0E
	v_exp_f32_e32 v12, v12                                     // 000000005810: 7E18410C
	v_exp_f32_e32 v13, v13                                     // 000000005814: 7E1A410D
	v_exp_f32_e32 v14, v14                                     // 000000005818: 7E1C410E
	v_exp_f32_e32 v15, v15                                     // 00000000581C: 7E1E410F
	v_pk_fma_f32 v[16:17], v[16:17], s[46:47], v[196:197]      // 000000005820: D3B04010 1F105D10
	v_pk_fma_f32 v[18:19], v[18:19], s[46:47], v[196:197]      // 000000005828: D3B04012 1F105D12
	v_exp_f32_e32 v16, v16                                     // 000000005830: 7E204110
	v_exp_f32_e32 v17, v17                                     // 000000005834: 7E224111
	v_exp_f32_e32 v18, v18                                     // 000000005838: 7E244112
	v_exp_f32_e32 v19, v19                                     // 00000000583C: 7E264113
	v_max_f32_e32 v157, v177, v153                             // 000000005840: 173B33B1
	v_mul_f32_e64 v196, -s46, v157                             // 000000005844: D10500C4 20033A2E
	v_mov_b32_e32 v197, v196                                   // 00000000584C: 7F8A03C4
	v_pk_fma_f32 v[20:21], v[20:21], s[46:47], v[196:197]      // 000000005850: D3B04014 1F105D14
	v_pk_fma_f32 v[22:23], v[22:23], s[46:47], v[196:197]      // 000000005858: D3B04016 1F105D16
	v_exp_f32_e32 v20, v20                                     // 000000005860: 7E284114
	v_exp_f32_e32 v21, v21                                     // 000000005864: 7E2A4115
	v_exp_f32_e32 v22, v22                                     // 000000005868: 7E2C4116
	v_exp_f32_e32 v23, v23                                     // 00000000586C: 7E2E4117
	v_pk_fma_f32 v[24:25], v[24:25], s[46:47], v[196:197]      // 000000005870: D3B04018 1F105D18
	v_pk_fma_f32 v[26:27], v[26:27], s[46:47], v[196:197]      // 000000005878: D3B0401A 1F105D1A
	v_exp_f32_e32 v24, v24                                     // 000000005880: 7E304118
	v_exp_f32_e32 v25, v25                                     // 000000005884: 7E324119
	v_exp_f32_e32 v26, v26                                     // 000000005888: 7E34411A
	v_exp_f32_e32 v27, v27                                     // 00000000588C: 7E36411B
	v_pk_fma_f32 v[28:29], v[28:29], s[46:47], v[196:197]      // 000000005890: D3B0401C 1F105D1C
	v_pk_fma_f32 v[30:31], v[30:31], s[46:47], v[196:197]      // 000000005898: D3B0401E 1F105D1E
	v_exp_f32_e32 v28, v28                                     // 0000000058A0: 7E38411C
	v_exp_f32_e32 v29, v29                                     // 0000000058A4: 7E3A411D
	v_exp_f32_e32 v30, v30                                     // 0000000058A8: 7E3C411E
	v_exp_f32_e32 v31, v31                                     // 0000000058AC: 7E3E411F
	v_pk_fma_f32 v[32:33], v[32:33], s[46:47], v[196:197]      // 0000000058B0: D3B04020 1F105D20
	v_pk_fma_f32 v[34:35], v[34:35], s[46:47], v[196:197]      // 0000000058B8: D3B04022 1F105D22
	v_exp_f32_e32 v32, v32                                     // 0000000058C0: 7E404120
	v_exp_f32_e32 v33, v33                                     // 0000000058C4: 7E424121
	v_exp_f32_e32 v34, v34                                     // 0000000058C8: 7E444122
	v_exp_f32_e32 v35, v35                                     // 0000000058CC: 7E464123
	v_max_f32_e32 v158, v178, v154                             // 0000000058D0: 173D35B2
	v_mul_f32_e64 v196, -s46, v158                             // 0000000058D4: D10500C4 20033C2E
	v_mov_b32_e32 v197, v196                                   // 0000000058DC: 7F8A03C4
	v_pk_fma_f32 v[36:37], v[36:37], s[46:47], v[196:197]      // 0000000058E0: D3B04024 1F105D24
	v_pk_fma_f32 v[38:39], v[38:39], s[46:47], v[196:197]      // 0000000058E8: D3B04026 1F105D26
	v_exp_f32_e32 v36, v36                                     // 0000000058F0: 7E484124
	v_exp_f32_e32 v37, v37                                     // 0000000058F4: 7E4A4125
	v_exp_f32_e32 v38, v38                                     // 0000000058F8: 7E4C4126
	v_exp_f32_e32 v39, v39                                     // 0000000058FC: 7E4E4127
	v_pk_fma_f32 v[40:41], v[40:41], s[46:47], v[196:197]      // 000000005900: D3B04028 1F105D28
	v_pk_fma_f32 v[42:43], v[42:43], s[46:47], v[196:197]      // 000000005908: D3B0402A 1F105D2A
	v_exp_f32_e32 v40, v40                                     // 000000005910: 7E504128
	v_exp_f32_e32 v41, v41                                     // 000000005914: 7E524129
	v_exp_f32_e32 v42, v42                                     // 000000005918: 7E54412A
	v_exp_f32_e32 v43, v43                                     // 00000000591C: 7E56412B
	v_pk_fma_f32 v[44:45], v[44:45], s[46:47], v[196:197]      // 000000005920: D3B0402C 1F105D2C
	v_pk_fma_f32 v[46:47], v[46:47], s[46:47], v[196:197]      // 000000005928: D3B0402E 1F105D2E
	v_exp_f32_e32 v44, v44                                     // 000000005930: 7E58412C
	v_exp_f32_e32 v45, v45                                     // 000000005934: 7E5A412D
	v_exp_f32_e32 v46, v46                                     // 000000005938: 7E5C412E
	v_exp_f32_e32 v47, v47                                     // 00000000593C: 7E5E412F
	v_pk_fma_f32 v[48:49], v[48:49], s[46:47], v[196:197]      // 000000005940: D3B04030 1F105D30
	v_pk_fma_f32 v[50:51], v[50:51], s[46:47], v[196:197]      // 000000005948: D3B04032 1F105D32
	v_exp_f32_e32 v48, v48                                     // 000000005950: 7E604130
	v_exp_f32_e32 v49, v49                                     // 000000005954: 7E624131
	v_exp_f32_e32 v50, v50                                     // 000000005958: 7E644132
	v_exp_f32_e32 v51, v51                                     // 00000000595C: 7E664133
	v_max_f32_e32 v159, v179, v155                             // 000000005960: 173F37B3
	v_mul_f32_e64 v196, -s46, v159                             // 000000005964: D10500C4 20033E2E
	v_mov_b32_e32 v197, v196                                   // 00000000596C: 7F8A03C4
	v_pk_fma_f32 v[52:53], v[52:53], s[46:47], v[196:197]      // 000000005970: D3B04034 1F105D34
	v_pk_fma_f32 v[54:55], v[54:55], s[46:47], v[196:197]      // 000000005978: D3B04036 1F105D36
	v_exp_f32_e32 v52, v52                                     // 000000005980: 7E684134
	v_exp_f32_e32 v53, v53                                     // 000000005984: 7E6A4135
	v_exp_f32_e32 v54, v54                                     // 000000005988: 7E6C4136
	v_exp_f32_e32 v55, v55                                     // 00000000598C: 7E6E4137
	v_pk_fma_f32 v[56:57], v[56:57], s[46:47], v[196:197]      // 000000005990: D3B04038 1F105D38
	v_pk_fma_f32 v[58:59], v[58:59], s[46:47], v[196:197]      // 000000005998: D3B0403A 1F105D3A
	v_exp_f32_e32 v56, v56                                     // 0000000059A0: 7E704138
	v_exp_f32_e32 v57, v57                                     // 0000000059A4: 7E724139
	v_exp_f32_e32 v58, v58                                     // 0000000059A8: 7E74413A
	v_exp_f32_e32 v59, v59                                     // 0000000059AC: 7E76413B
	v_pk_fma_f32 v[60:61], v[60:61], s[46:47], v[196:197]      // 0000000059B0: D3B0403C 1F105D3C
	v_pk_fma_f32 v[62:63], v[62:63], s[46:47], v[196:197]      // 0000000059B8: D3B0403E 1F105D3E
	v_exp_f32_e32 v60, v60                                     // 0000000059C0: 7E78413C
	v_exp_f32_e32 v61, v61                                     // 0000000059C4: 7E7A413D
	v_exp_f32_e32 v62, v62                                     // 0000000059C8: 7E7C413E
	v_exp_f32_e32 v63, v63                                     // 0000000059CC: 7E7E413F
	v_pk_fma_f32 v[64:65], v[64:65], s[46:47], v[196:197]      // 0000000059D0: D3B04040 1F105D40
	v_pk_fma_f32 v[66:67], v[66:67], s[46:47], v[196:197]      // 0000000059D8: D3B04042 1F105D42
	v_exp_f32_e32 v64, v64                                     // 0000000059E0: 7E804140
	v_exp_f32_e32 v65, v65                                     // 0000000059E4: 7E824141
	v_exp_f32_e32 v66, v66                                     // 0000000059E8: 7E844142
	v_exp_f32_e32 v67, v67                                     // 0000000059EC: 7E864143
	v_sub_f32_e32 v160, v152, v156                             // 0000000059F0: 05413998
	v_cmp_eq_u32_e64 s[98:99], v216, v152                      // 0000000059F4: D0CA0062 000331D8
	v_cndmask_b32_e64 v160, v160, 0, s[98:99]                  // 0000000059FC: D10000A0 018901A0
	v_mov_b32_e32 v152, v156                                   // 000000005A04: 7F30039C
	v_mul_f32_e32 v160, s46, v160                              // 000000005A08: 0B41402E
	v_exp_f32_e32 v160, v160                                   // 000000005A0C: 7F4041A0
	v_sub_f32_e32 v162, v153, v157                             // 000000005A10: 05453B99
	v_cmp_eq_u32_e64 s[98:99], v216, v153                      // 000000005A14: D0CA0062 000333D8
	v_cndmask_b32_e64 v162, v162, 0, s[98:99]                  // 000000005A1C: D10000A2 018901A2
	v_mov_b32_e32 v153, v157                                   // 000000005A24: 7F32039D
	v_mul_f32_e32 v162, s46, v162                              // 000000005A28: 0B45442E
	v_exp_f32_e32 v162, v162                                   // 000000005A2C: 7F4441A2
	v_sub_f32_e32 v164, v154, v158                             // 000000005A30: 05493D9A
	v_cmp_eq_u32_e64 s[98:99], v216, v154                      // 000000005A34: D0CA0062 000335D8
	v_cndmask_b32_e64 v164, v164, 0, s[98:99]                  // 000000005A3C: D10000A4 018901A4
	v_mov_b32_e32 v154, v158                                   // 000000005A44: 7F34039E
	v_mul_f32_e32 v164, s46, v164                              // 000000005A48: 0B49482E
	v_exp_f32_e32 v164, v164                                   // 000000005A4C: 7F4841A4
	v_sub_f32_e32 v166, v155, v159                             // 000000005A50: 054D3F9B
	v_cmp_eq_u32_e64 s[98:99], v216, v155                      // 000000005A54: D0CA0062 000337D8
	v_cndmask_b32_e64 v166, v166, 0, s[98:99]                  // 000000005A5C: D10000A6 018901A6
	v_mov_b32_e32 v155, v159                                   // 000000005A64: 7F36039F
	v_mul_f32_e32 v166, s46, v166                              // 000000005A68: 0B4D4C2E
	v_exp_f32_e32 v166, v166                                   // 000000005A6C: 7F4C41A6
	v_mov_b32_e32 v161, v160                                   // 000000005A70: 7F4203A0
	v_mov_b32_e32 v163, v162                                   // 000000005A74: 7F4603A2
	v_mov_b32_e32 v165, v164                                   // 000000005A78: 7F4A03A4
	v_mov_b32_e32 v167, v166                                   // 000000005A7C: 7F4E03A6
	v_mul_f32_e32 v168, v160, v168                             // 000000005A80: 0B5151A0
	v_mov_b32_e32 v169, 0                                      // 000000005A84: 7F520280
	v_pk_add_f32 v[168:169], v[4:5], v[168:169]                // 000000005A88: D3B240A8 18035104
	v_pk_add_f32 v[168:169], v[6:7], v[168:169]                // 000000005A90: D3B240A8 18035106
	v_pk_add_f32 v[168:169], v[8:9], v[168:169]                // 000000005A98: D3B240A8 18035108
	v_pk_add_f32 v[168:169], v[10:11], v[168:169]              // 000000005AA0: D3B240A8 1803510A
	v_pk_add_f32 v[168:169], v[12:13], v[168:169]              // 000000005AA8: D3B240A8 1803510C
	v_pk_add_f32 v[168:169], v[14:15], v[168:169]              // 000000005AB0: D3B240A8 1803510E
	v_pk_add_f32 v[168:169], v[16:17], v[168:169]              // 000000005AB8: D3B240A8 18035110
	v_pk_add_f32 v[168:169], v[18:19], v[168:169]              // 000000005AC0: D3B240A8 18035112
	v_add_f32_e32 v168, v169, v168                             // 000000005AC8: 035151A9
	v_mul_f32_e32 v170, v162, v170                             // 000000005ACC: 0B5555A2
	v_mov_b32_e32 v171, 0                                      // 000000005AD0: 7F560280
	v_pk_add_f32 v[170:171], v[20:21], v[170:171]              // 000000005AD4: D3B240AA 18035514
	v_pk_add_f32 v[170:171], v[22:23], v[170:171]              // 000000005ADC: D3B240AA 18035516
	v_pk_add_f32 v[170:171], v[24:25], v[170:171]              // 000000005AE4: D3B240AA 18035518
	v_pk_add_f32 v[170:171], v[26:27], v[170:171]              // 000000005AEC: D3B240AA 1803551A
	v_pk_add_f32 v[170:171], v[28:29], v[170:171]              // 000000005AF4: D3B240AA 1803551C
	v_pk_add_f32 v[170:171], v[30:31], v[170:171]              // 000000005AFC: D3B240AA 1803551E
	v_pk_add_f32 v[170:171], v[32:33], v[170:171]              // 000000005B04: D3B240AA 18035520
	v_pk_add_f32 v[170:171], v[34:35], v[170:171]              // 000000005B0C: D3B240AA 18035522
	v_add_f32_e32 v170, v171, v170                             // 000000005B14: 035555AB
	v_mul_f32_e32 v172, v164, v172                             // 000000005B18: 0B5959A4
	v_mov_b32_e32 v173, 0                                      // 000000005B1C: 7F5A0280
	v_pk_add_f32 v[172:173], v[36:37], v[172:173]              // 000000005B20: D3B240AC 18035924
	v_pk_add_f32 v[172:173], v[38:39], v[172:173]              // 000000005B28: D3B240AC 18035926
	v_pk_add_f32 v[172:173], v[40:41], v[172:173]              // 000000005B30: D3B240AC 18035928
	v_pk_add_f32 v[172:173], v[42:43], v[172:173]              // 000000005B38: D3B240AC 1803592A
	v_pk_add_f32 v[172:173], v[44:45], v[172:173]              // 000000005B40: D3B240AC 1803592C
	v_pk_add_f32 v[172:173], v[46:47], v[172:173]              // 000000005B48: D3B240AC 1803592E
	v_pk_add_f32 v[172:173], v[48:49], v[172:173]              // 000000005B50: D3B240AC 18035930
	v_pk_add_f32 v[172:173], v[50:51], v[172:173]              // 000000005B58: D3B240AC 18035932
	v_add_f32_e32 v172, v173, v172                             // 000000005B60: 035959AD
	v_mul_f32_e32 v174, v166, v174                             // 000000005B64: 0B5D5DA6
	v_mov_b32_e32 v175, 0                                      // 000000005B68: 7F5E0280
	v_pk_add_f32 v[174:175], v[52:53], v[174:175]              // 000000005B6C: D3B240AE 18035D34
	v_pk_add_f32 v[174:175], v[54:55], v[174:175]              // 000000005B74: D3B240AE 18035D36
	v_pk_add_f32 v[174:175], v[56:57], v[174:175]              // 000000005B7C: D3B240AE 18035D38
	v_pk_add_f32 v[174:175], v[58:59], v[174:175]              // 000000005B84: D3B240AE 18035D3A
	v_pk_add_f32 v[174:175], v[60:61], v[174:175]              // 000000005B8C: D3B240AE 18035D3C
	v_pk_add_f32 v[174:175], v[62:63], v[174:175]              // 000000005B94: D3B240AE 18035D3E
	v_pk_add_f32 v[174:175], v[64:65], v[174:175]              // 000000005B9C: D3B240AE 18035D40
	v_pk_add_f32 v[174:175], v[66:67], v[174:175]              // 000000005BA4: D3B240AE 18035D42
	v_add_f32_e32 v174, v175, v174                             // 000000005BAC: 035D5DAF
	v_mul_f32_dpp v4, v143, v4 row_newbcast:0 row_mask:0xf bank_mask:0xf// 000000005BB0: 0A0808FA FF01508F
	v_mul_f32_dpp v5, v143, v5 row_newbcast:1 row_mask:0xf bank_mask:0xf// 000000005BB8: 0A0A0AFA FF01518F
	v_mul_f32_dpp v6, v143, v6 row_newbcast:2 row_mask:0xf bank_mask:0xf// 000000005BC0: 0A0C0CFA FF01528F
	v_mul_f32_dpp v7, v143, v7 row_newbcast:3 row_mask:0xf bank_mask:0xf// 000000005BC8: 0A0E0EFA FF01538F
	v_mul_f32_dpp v8, v143, v8 row_newbcast:4 row_mask:0xf bank_mask:0xf// 000000005BD0: 0A1010FA FF01548F
	v_mul_f32_dpp v9, v143, v9 row_newbcast:5 row_mask:0xf bank_mask:0xf// 000000005BD8: 0A1212FA FF01558F
	v_mul_f32_dpp v10, v143, v10 row_newbcast:6 row_mask:0xf bank_mask:0xf// 000000005BE0: 0A1414FA FF01568F
	v_mul_f32_dpp v11, v143, v11 row_newbcast:7 row_mask:0xf bank_mask:0xf// 000000005BE8: 0A1616FA FF01578F
	v_mul_f32_dpp v12, v143, v12 row_newbcast:8 row_mask:0xf bank_mask:0xf// 000000005BF0: 0A1818FA FF01588F
	v_mul_f32_dpp v13, v143, v13 row_newbcast:9 row_mask:0xf bank_mask:0xf// 000000005BF8: 0A1A1AFA FF01598F
	v_mul_f32_dpp v14, v143, v14 row_newbcast:10 row_mask:0xf bank_mask:0xf// 000000005C00: 0A1C1CFA FF015A8F
	v_mul_f32_dpp v15, v143, v15 row_newbcast:11 row_mask:0xf bank_mask:0xf// 000000005C08: 0A1E1EFA FF015B8F
	v_mul_f32_dpp v16, v143, v16 row_newbcast:12 row_mask:0xf bank_mask:0xf// 000000005C10: 0A2020FA FF015C8F
	v_mul_f32_dpp v17, v143, v17 row_newbcast:13 row_mask:0xf bank_mask:0xf// 000000005C18: 0A2222FA FF015D8F
	v_mul_f32_dpp v18, v143, v18 row_newbcast:14 row_mask:0xf bank_mask:0xf// 000000005C20: 0A2424FA FF015E8F
	v_mul_f32_dpp v19, v143, v19 row_newbcast:15 row_mask:0xf bank_mask:0xf// 000000005C28: 0A2626FA FF015F8F
	v_mul_f32_dpp v20, v143, v20 row_newbcast:0 row_mask:0xf bank_mask:0xf// 000000005C30: 0A2828FA FF01508F
	v_mul_f32_dpp v21, v143, v21 row_newbcast:1 row_mask:0xf bank_mask:0xf// 000000005C38: 0A2A2AFA FF01518F
	v_mul_f32_dpp v22, v143, v22 row_newbcast:2 row_mask:0xf bank_mask:0xf// 000000005C40: 0A2C2CFA FF01528F
	v_mul_f32_dpp v23, v143, v23 row_newbcast:3 row_mask:0xf bank_mask:0xf// 000000005C48: 0A2E2EFA FF01538F
	v_mul_f32_dpp v24, v143, v24 row_newbcast:4 row_mask:0xf bank_mask:0xf// 000000005C50: 0A3030FA FF01548F
	v_mul_f32_dpp v25, v143, v25 row_newbcast:5 row_mask:0xf bank_mask:0xf// 000000005C58: 0A3232FA FF01558F
	v_mul_f32_dpp v26, v143, v26 row_newbcast:6 row_mask:0xf bank_mask:0xf// 000000005C60: 0A3434FA FF01568F
	v_mul_f32_dpp v27, v143, v27 row_newbcast:7 row_mask:0xf bank_mask:0xf// 000000005C68: 0A3636FA FF01578F
	v_mul_f32_dpp v28, v143, v28 row_newbcast:8 row_mask:0xf bank_mask:0xf// 000000005C70: 0A3838FA FF01588F
	v_mul_f32_dpp v29, v143, v29 row_newbcast:9 row_mask:0xf bank_mask:0xf// 000000005C78: 0A3A3AFA FF01598F
	v_mul_f32_dpp v30, v143, v30 row_newbcast:10 row_mask:0xf bank_mask:0xf// 000000005C80: 0A3C3CFA FF015A8F
	v_mul_f32_dpp v31, v143, v31 row_newbcast:11 row_mask:0xf bank_mask:0xf// 000000005C88: 0A3E3EFA FF015B8F
	v_mul_f32_dpp v32, v143, v32 row_newbcast:12 row_mask:0xf bank_mask:0xf// 000000005C90: 0A4040FA FF015C8F
	v_mul_f32_dpp v33, v143, v33 row_newbcast:13 row_mask:0xf bank_mask:0xf// 000000005C98: 0A4242FA FF015D8F
	v_mul_f32_dpp v34, v143, v34 row_newbcast:14 row_mask:0xf bank_mask:0xf// 000000005CA0: 0A4444FA FF015E8F
	v_mul_f32_dpp v35, v143, v35 row_newbcast:15 row_mask:0xf bank_mask:0xf// 000000005CA8: 0A4646FA FF015F8F
	v_mul_f32_dpp v36, v143, v36 row_newbcast:0 row_mask:0xf bank_mask:0xf// 000000005CB0: 0A4848FA FF01508F
	v_mul_f32_dpp v37, v143, v37 row_newbcast:1 row_mask:0xf bank_mask:0xf// 000000005CB8: 0A4A4AFA FF01518F
	v_mul_f32_dpp v38, v143, v38 row_newbcast:2 row_mask:0xf bank_mask:0xf// 000000005CC0: 0A4C4CFA FF01528F
	v_mul_f32_dpp v39, v143, v39 row_newbcast:3 row_mask:0xf bank_mask:0xf// 000000005CC8: 0A4E4EFA FF01538F
	v_mul_f32_dpp v40, v143, v40 row_newbcast:4 row_mask:0xf bank_mask:0xf// 000000005CD0: 0A5050FA FF01548F
	v_mul_f32_dpp v41, v143, v41 row_newbcast:5 row_mask:0xf bank_mask:0xf// 000000005CD8: 0A5252FA FF01558F
	v_mul_f32_dpp v42, v143, v42 row_newbcast:6 row_mask:0xf bank_mask:0xf// 000000005CE0: 0A5454FA FF01568F
	v_mul_f32_dpp v43, v143, v43 row_newbcast:7 row_mask:0xf bank_mask:0xf// 000000005CE8: 0A5656FA FF01578F
	v_mul_f32_dpp v44, v143, v44 row_newbcast:8 row_mask:0xf bank_mask:0xf// 000000005CF0: 0A5858FA FF01588F
	v_mul_f32_dpp v45, v143, v45 row_newbcast:9 row_mask:0xf bank_mask:0xf// 000000005CF8: 0A5A5AFA FF01598F
	v_mul_f32_dpp v46, v143, v46 row_newbcast:10 row_mask:0xf bank_mask:0xf// 000000005D00: 0A5C5CFA FF015A8F
	v_mul_f32_dpp v47, v143, v47 row_newbcast:11 row_mask:0xf bank_mask:0xf// 000000005D08: 0A5E5EFA FF015B8F
	v_mul_f32_dpp v48, v143, v48 row_newbcast:12 row_mask:0xf bank_mask:0xf// 000000005D10: 0A6060FA FF015C8F
	v_mul_f32_dpp v49, v143, v49 row_newbcast:13 row_mask:0xf bank_mask:0xf// 000000005D18: 0A6262FA FF015D8F
	v_mul_f32_dpp v50, v143, v50 row_newbcast:14 row_mask:0xf bank_mask:0xf// 000000005D20: 0A6464FA FF015E8F
	v_mul_f32_dpp v51, v143, v51 row_newbcast:15 row_mask:0xf bank_mask:0xf// 000000005D28: 0A6666FA FF015F8F
	v_mul_f32_dpp v52, v143, v52 row_newbcast:0 row_mask:0xf bank_mask:0xf// 000000005D30: 0A6868FA FF01508F
	v_mul_f32_dpp v53, v143, v53 row_newbcast:1 row_mask:0xf bank_mask:0xf// 000000005D38: 0A6A6AFA FF01518F
	v_mul_f32_dpp v54, v143, v54 row_newbcast:2 row_mask:0xf bank_mask:0xf// 000000005D40: 0A6C6CFA FF01528F
	v_mul_f32_dpp v55, v143, v55 row_newbcast:3 row_mask:0xf bank_mask:0xf// 000000005D48: 0A6E6EFA FF01538F
	v_mul_f32_dpp v56, v143, v56 row_newbcast:4 row_mask:0xf bank_mask:0xf// 000000005D50: 0A7070FA FF01548F
	v_mul_f32_dpp v57, v143, v57 row_newbcast:5 row_mask:0xf bank_mask:0xf// 000000005D58: 0A7272FA FF01558F
	v_mul_f32_dpp v58, v143, v58 row_newbcast:6 row_mask:0xf bank_mask:0xf// 000000005D60: 0A7474FA FF01568F
	v_mul_f32_dpp v59, v143, v59 row_newbcast:7 row_mask:0xf bank_mask:0xf// 000000005D68: 0A7676FA FF01578F
	v_mul_f32_dpp v60, v143, v60 row_newbcast:8 row_mask:0xf bank_mask:0xf// 000000005D70: 0A7878FA FF01588F
	v_mul_f32_dpp v61, v143, v61 row_newbcast:9 row_mask:0xf bank_mask:0xf// 000000005D78: 0A7A7AFA FF01598F
	v_mul_f32_dpp v62, v143, v62 row_newbcast:10 row_mask:0xf bank_mask:0xf// 000000005D80: 0A7C7CFA FF015A8F
	v_mul_f32_dpp v63, v143, v63 row_newbcast:11 row_mask:0xf bank_mask:0xf// 000000005D88: 0A7E7EFA FF015B8F
	v_mul_f32_dpp v64, v143, v64 row_newbcast:12 row_mask:0xf bank_mask:0xf// 000000005D90: 0A8080FA FF015C8F
	v_mul_f32_dpp v65, v143, v65 row_newbcast:13 row_mask:0xf bank_mask:0xf// 000000005D98: 0A8282FA FF015D8F
	v_mul_f32_dpp v66, v143, v66 row_newbcast:14 row_mask:0xf bank_mask:0xf// 000000005DA0: 0A8484FA FF015E8F
	v_mul_f32_dpp v67, v143, v67 row_newbcast:15 row_mask:0xf bank_mask:0xf// 000000005DA8: 0A8686FA FF015F8F
	buffer_load_dword v140, v231, s[20:23], 0 offen            // 000000005DB0: E0501000 80058CE7
	s_waitcnt lgkmcnt(0)                                       // 000000005DB8: BF8CC07F
	s_barrier                                                  // 000000005DBC: BF8A0000
	buffer_load_dword v142, v232, s[24:27], 0 offen            // 000000005DC0: E0501000 80068EE8
	s_waitcnt lgkmcnt(0)                                       // 000000005DC8: BF8CC07F
	v_sub_f32_e32 v176, v176, v152                             // 000000005DCC: 056131B0
	v_sub_f32_e32 v177, v177, v153                             // 000000005DD0: 056333B1
	v_sub_f32_e32 v178, v178, v154                             // 000000005DD4: 056535B2
	v_sub_f32_e32 v179, v179, v155                             // 000000005DD8: 056737B3
	v_mul_f32_e32 v176, s46, v176                              // 000000005DDC: 0B61602E
	v_mul_f32_e32 v177, s46, v177                              // 000000005DE0: 0B63622E
	v_mul_f32_e32 v178, s46, v178                              // 000000005DE4: 0B65642E
	v_mul_f32_e32 v179, s46, v179                              // 000000005DE8: 0B67662E
	v_exp_f32_e32 v176, v176                                   // 000000005DEC: 7F6041B0
	v_exp_f32_e32 v177, v177                                   // 000000005DF0: 7F6241B1
	v_exp_f32_e32 v178, v178                                   // 000000005DF4: 7F6441B2
	v_exp_f32_e32 v179, v179                                   // 000000005DF8: 7F6641B3
	v_mul_f32_e32 v176, v143, v176                             // 000000005DFC: 0B61618F
	v_mul_f32_e32 v177, v143, v177                             // 000000005E00: 0B63638F
	v_mul_f32_e32 v178, v143, v178                             // 000000005E04: 0B65658F
	v_mul_f32_e32 v179, v143, v179                             // 000000005E08: 0B67678F
	v_add_f32_e32 v176, 0x3089705f, v176                       // 000000005E0C: 036160FF 3089705F
	v_add_f32_e32 v177, 0x3089705f, v177                       // 000000005E14: 036362FF 3089705F
	v_add_f32_e32 v178, 0x3089705f, v178                       // 000000005E1C: 036564FF 3089705F
	v_add_f32_e32 v179, 0x3089705f, v179                       // 000000005E24: 036766FF 3089705F
	v_rcp_f32_e32 v176, v176                                   // 000000005E2C: 7F6045B0
	v_rcp_f32_e32 v177, v177                                   // 000000005E30: 7F6245B1
	v_rcp_f32_e32 v178, v178                                   // 000000005E34: 7F6445B2
	v_rcp_f32_e32 v179, v179                                   // 000000005E38: 7F6645B3
	v_mul_f32_e32 v176, 0x43700000, v176                       // 000000005E3C: 0B6160FF 43700000
	v_mul_f32_e32 v177, 0x43700000, v177                       // 000000005E44: 0B6362FF 43700000
	v_mul_f32_e32 v178, 0x43700000, v178                       // 000000005E4C: 0B6564FF 43700000
	v_mul_f32_e32 v179, 0x43700000, v179                       // 000000005E54: 0B6766FF 43700000
	v_mul_f32_e32 v4, v176, v4                                 // 000000005E5C: 0A0809B0
	v_mul_f32_e32 v5, v176, v5                                 // 000000005E60: 0A0A0BB0
	v_mul_f32_e32 v6, v176, v6                                 // 000000005E64: 0A0C0DB0
	v_mul_f32_e32 v7, v176, v7                                 // 000000005E68: 0A0E0FB0
	v_mul_f32_e32 v8, v176, v8                                 // 000000005E6C: 0A1011B0
	v_mul_f32_e32 v9, v176, v9                                 // 000000005E70: 0A1213B0
	v_mul_f32_e32 v10, v176, v10                               // 000000005E74: 0A1415B0
	v_mul_f32_e32 v11, v176, v11                               // 000000005E78: 0A1617B0
	v_mul_f32_e32 v12, v176, v12                               // 000000005E7C: 0A1819B0
	v_mul_f32_e32 v13, v176, v13                               // 000000005E80: 0A1A1BB0
	v_mul_f32_e32 v14, v176, v14                               // 000000005E84: 0A1C1DB0
	v_mul_f32_e32 v15, v176, v15                               // 000000005E88: 0A1E1FB0
	v_mul_f32_e32 v16, v176, v16                               // 000000005E8C: 0A2021B0
	v_mul_f32_e32 v17, v176, v17                               // 000000005E90: 0A2223B0
	v_mul_f32_e32 v18, v176, v18                               // 000000005E94: 0A2425B0
	v_mul_f32_e32 v19, v176, v19                               // 000000005E98: 0A2627B0
	v_mul_f32_e32 v20, v177, v20                               // 000000005E9C: 0A2829B1
	v_mul_f32_e32 v21, v177, v21                               // 000000005EA0: 0A2A2BB1
	v_mul_f32_e32 v22, v177, v22                               // 000000005EA4: 0A2C2DB1
	v_mul_f32_e32 v23, v177, v23                               // 000000005EA8: 0A2E2FB1
	v_mul_f32_e32 v24, v177, v24                               // 000000005EAC: 0A3031B1
	v_mul_f32_e32 v25, v177, v25                               // 000000005EB0: 0A3233B1
	v_mul_f32_e32 v26, v177, v26                               // 000000005EB4: 0A3435B1
	v_mul_f32_e32 v27, v177, v27                               // 000000005EB8: 0A3637B1
	v_mul_f32_e32 v28, v177, v28                               // 000000005EBC: 0A3839B1
	v_mul_f32_e32 v29, v177, v29                               // 000000005EC0: 0A3A3BB1
	v_mul_f32_e32 v30, v177, v30                               // 000000005EC4: 0A3C3DB1
	v_mul_f32_e32 v31, v177, v31                               // 000000005EC8: 0A3E3FB1
	v_mul_f32_e32 v32, v177, v32                               // 000000005ECC: 0A4041B1
	v_mul_f32_e32 v33, v177, v33                               // 000000005ED0: 0A4243B1
	v_mul_f32_e32 v34, v177, v34                               // 000000005ED4: 0A4445B1
	v_mul_f32_e32 v35, v177, v35                               // 000000005ED8: 0A4647B1
	v_mul_f32_e32 v36, v178, v36                               // 000000005EDC: 0A4849B2
	v_mul_f32_e32 v37, v178, v37                               // 000000005EE0: 0A4A4BB2
	v_mul_f32_e32 v38, v178, v38                               // 000000005EE4: 0A4C4DB2
	v_mul_f32_e32 v39, v178, v39                               // 000000005EE8: 0A4E4FB2
	v_mul_f32_e32 v40, v178, v40                               // 000000005EEC: 0A5051B2
	v_mul_f32_e32 v41, v178, v41                               // 000000005EF0: 0A5253B2
	v_mul_f32_e32 v42, v178, v42                               // 000000005EF4: 0A5455B2
	v_mul_f32_e32 v43, v178, v43                               // 000000005EF8: 0A5657B2
	v_mul_f32_e32 v44, v178, v44                               // 000000005EFC: 0A5859B2
	v_mul_f32_e32 v45, v178, v45                               // 000000005F00: 0A5A5BB2
	v_mul_f32_e32 v46, v178, v46                               // 000000005F04: 0A5C5DB2
	v_mul_f32_e32 v47, v178, v47                               // 000000005F08: 0A5E5FB2
	v_mul_f32_e32 v48, v178, v48                               // 000000005F0C: 0A6061B2
	v_mul_f32_e32 v49, v178, v49                               // 000000005F10: 0A6263B2
	v_mul_f32_e32 v50, v178, v50                               // 000000005F14: 0A6465B2
	v_mul_f32_e32 v51, v178, v51                               // 000000005F18: 0A6667B2
	v_mul_f32_e32 v52, v179, v52                               // 000000005F1C: 0A6869B3
	v_mul_f32_e32 v53, v179, v53                               // 000000005F20: 0A6A6BB3
	v_mul_f32_e32 v54, v179, v54                               // 000000005F24: 0A6C6DB3
	v_mul_f32_e32 v55, v179, v55                               // 000000005F28: 0A6E6FB3
	v_mul_f32_e32 v56, v179, v56                               // 000000005F2C: 0A7071B3
	v_mul_f32_e32 v57, v179, v57                               // 000000005F30: 0A7273B3
	v_mul_f32_e32 v58, v179, v58                               // 000000005F34: 0A7475B3
	v_mul_f32_e32 v59, v179, v59                               // 000000005F38: 0A7677B3
	v_mul_f32_e32 v60, v179, v60                               // 000000005F3C: 0A7879B3
	v_mul_f32_e32 v61, v179, v61                               // 000000005F40: 0A7A7BB3
	v_mul_f32_e32 v62, v179, v62                               // 000000005F44: 0A7C7DB3
	v_mul_f32_e32 v63, v179, v63                               // 000000005F48: 0A7E7FB3
	v_mul_f32_e32 v64, v179, v64                               // 000000005F4C: 0A8081B3
	v_mul_f32_e32 v65, v179, v65                               // 000000005F50: 0A8283B3
	v_mul_f32_e32 v66, v179, v66                               // 000000005F54: 0A8485B3
	v_mul_f32_e32 v67, v179, v67                               // 000000005F58: 0A8687B3
	v_cvt_pk_fp8_f32 v4, v4, v5                                // 000000005F5C: D2A20004 00020B04
	v_cvt_pk_fp8_f32 v4, v6, v7 op_sel:[0,0,1]                 // 000000005F64: D2A24004 00020F06
	v_cvt_pk_fp8_f32 v5, v8, v9                                // 000000005F6C: D2A20005 00021308
	v_cvt_pk_fp8_f32 v5, v10, v11 op_sel:[0,0,1]               // 000000005F74: D2A24005 0002170A
	v_cvt_pk_fp8_f32 v6, v12, v13                              // 000000005F7C: D2A20006 00021B0C
	v_cvt_pk_fp8_f32 v6, v14, v15 op_sel:[0,0,1]               // 000000005F84: D2A24006 00021F0E
	v_cvt_pk_fp8_f32 v7, v16, v17                              // 000000005F8C: D2A20007 00022310
	v_cvt_pk_fp8_f32 v7, v18, v19 op_sel:[0,0,1]               // 000000005F94: D2A24007 00022712
	v_cvt_pk_fp8_f32 v8, v20, v21                              // 000000005F9C: D2A20008 00022B14
	v_cvt_pk_fp8_f32 v8, v22, v23 op_sel:[0,0,1]               // 000000005FA4: D2A24008 00022F16
	v_cvt_pk_fp8_f32 v9, v24, v25                              // 000000005FAC: D2A20009 00023318
	v_cvt_pk_fp8_f32 v9, v26, v27 op_sel:[0,0,1]               // 000000005FB4: D2A24009 0002371A
	v_cvt_pk_fp8_f32 v10, v28, v29                             // 000000005FBC: D2A2000A 00023B1C
	v_cvt_pk_fp8_f32 v10, v30, v31 op_sel:[0,0,1]              // 000000005FC4: D2A2400A 00023F1E
	v_cvt_pk_fp8_f32 v11, v32, v33                             // 000000005FCC: D2A2000B 00024320
	v_cvt_pk_fp8_f32 v11, v34, v35 op_sel:[0,0,1]              // 000000005FD4: D2A2400B 00024722
	v_cvt_pk_fp8_f32 v12, v36, v37                             // 000000005FDC: D2A2000C 00024B24
	v_cvt_pk_fp8_f32 v12, v38, v39 op_sel:[0,0,1]              // 000000005FE4: D2A2400C 00024F26
	v_cvt_pk_fp8_f32 v13, v40, v41                             // 000000005FEC: D2A2000D 00025328
	v_cvt_pk_fp8_f32 v13, v42, v43 op_sel:[0,0,1]              // 000000005FF4: D2A2400D 0002572A
	v_cvt_pk_fp8_f32 v14, v44, v45                             // 000000005FFC: D2A2000E 00025B2C
	v_cvt_pk_fp8_f32 v14, v46, v47 op_sel:[0,0,1]              // 000000006004: D2A2400E 00025F2E
	v_cvt_pk_fp8_f32 v15, v48, v49                             // 00000000600C: D2A2000F 00026330
	v_cvt_pk_fp8_f32 v15, v50, v51 op_sel:[0,0,1]              // 000000006014: D2A2400F 00026732
	v_cvt_pk_fp8_f32 v16, v52, v53                             // 00000000601C: D2A20010 00026B34
	v_cvt_pk_fp8_f32 v16, v54, v55 op_sel:[0,0,1]              // 000000006024: D2A24010 00026F36
	v_cvt_pk_fp8_f32 v17, v56, v57                             // 00000000602C: D2A20011 00027338
	v_cvt_pk_fp8_f32 v17, v58, v59 op_sel:[0,0,1]              // 000000006034: D2A24011 0002773A
	v_cvt_pk_fp8_f32 v18, v60, v61                             // 00000000603C: D2A20012 00027B3C
	v_cvt_pk_fp8_f32 v18, v62, v63 op_sel:[0,0,1]              // 000000006044: D2A24012 00027F3E
	v_cvt_pk_fp8_f32 v19, v64, v65                             // 00000000604C: D2A20013 00028340
	v_cvt_pk_fp8_f32 v19, v66, v67 op_sel:[0,0,1]              // 000000006054: D2A24013 00028742
	ds_write_b32 v249, v4 offset:8192                          // 00000000605C: D81A2000 000004F9
	ds_write_b32 v249, v5 offset:9216                          // 000000006064: D81A2400 000005F9
	ds_write_b32 v249, v6 offset:10240                         // 00000000606C: D81A2800 000006F9
	ds_write_b32 v249, v7 offset:11264                         // 000000006074: D81A2C00 000007F9
	ds_write_b32 v249, v8 offset:12288                         // 00000000607C: D81A3000 000008F9
	ds_write_b32 v249, v9 offset:13312                         // 000000006084: D81A3400 000009F9
	ds_write_b32 v249, v10 offset:14336                        // 00000000608C: D81A3800 00000AF9
	ds_write_b32 v249, v11 offset:15360                        // 000000006094: D81A3C00 00000BF9
	ds_write_b32 v249, v12 offset:16384                        // 00000000609C: D81A4000 00000CF9
	ds_write_b32 v249, v13 offset:17408                        // 0000000060A4: D81A4400 00000DF9
	ds_write_b32 v249, v14 offset:18432                        // 0000000060AC: D81A4800 00000EF9
	ds_write_b32 v249, v15 offset:19456                        // 0000000060B4: D81A4C00 00000FF9
	ds_write_b32 v249, v16 offset:20480                        // 0000000060BC: D81A5000 000010F9
	ds_write_b32 v249, v17 offset:21504                        // 0000000060C4: D81A5400 000011F9
	ds_write_b32 v249, v18 offset:22528                        // 0000000060CC: D81A5800 000012F9
	ds_write_b32 v249, v19 offset:23552                        // 0000000060D4: D81A5C00 000013F9
	v_rcp_f32_e32 v144, v176                                   // 0000000060DC: 7F2045B0
	v_rcp_f32_e32 v146, v177                                   // 0000000060E0: 7F2445B1
	v_rcp_f32_e32 v148, v178                                   // 0000000060E4: 7F2845B2
	v_rcp_f32_e32 v150, v179                                   // 0000000060E8: 7F2C45B3
	v_mov_b32_e32 v145, v144                                   // 0000000060EC: 7F220390
	v_mov_b32_e32 v147, v146                                   // 0000000060F0: 7F260392
	v_mov_b32_e32 v149, v148                                   // 0000000060F4: 7F2A0394
	v_mov_b32_e32 v151, v150                                   // 0000000060F8: 7F2E0396
	v_pk_add_f32 v[100:101], v[100:101], v[68:69]              // 0000000060FC: D3B24064 18028964
	v_pk_add_f32 v[102:103], v[102:103], v[70:71]              // 000000006104: D3B24066 18028D66
	v_pk_add_f32 v[104:105], v[104:105], v[72:73]              // 00000000610C: D3B24068 18029168
	v_pk_add_f32 v[106:107], v[106:107], v[74:75]              // 000000006114: D3B2406A 1802956A
	v_pk_add_f32 v[108:109], v[108:109], v[76:77]              // 00000000611C: D3B2406C 1802996C
	v_pk_add_f32 v[110:111], v[110:111], v[78:79]              // 000000006124: D3B2406E 18029D6E
	v_pk_add_f32 v[112:113], v[112:113], v[80:81]              // 00000000612C: D3B24070 1802A170
	v_pk_add_f32 v[114:115], v[114:115], v[82:83]              // 000000006134: D3B24072 1802A572
	v_pk_add_f32 v[116:117], v[116:117], v[84:85]              // 00000000613C: D3B24074 1802A974
	v_pk_add_f32 v[118:119], v[118:119], v[86:87]              // 000000006144: D3B24076 1802AD76
	v_pk_add_f32 v[120:121], v[120:121], v[88:89]              // 00000000614C: D3B24078 1802B178
	v_pk_add_f32 v[122:123], v[122:123], v[90:91]              // 000000006154: D3B2407A 1802B57A
	v_pk_add_f32 v[124:125], v[124:125], v[92:93]              // 00000000615C: D3B2407C 1802B97C
	v_pk_add_f32 v[126:127], v[126:127], v[94:95]              // 000000006164: D3B2407E 1802BD7E
	v_pk_add_f32 v[128:129], v[128:129], v[96:97]              // 00000000616C: D3B24080 1802C180
	v_pk_add_f32 v[130:131], v[130:131], v[98:99]              // 000000006174: D3B24082 1802C582
	s_waitcnt lgkmcnt(0)                                       // 00000000617C: BF8CC07F
	s_barrier                                                  // 000000006180: BF8A0000
	ds_read_b128 v[4:7], v250 offset:8192                      // 000000006184: D9FE2000 040000FA
	ds_read_b128 v[8:11], v250 offset:9216                     // 00000000618C: D9FE2400 080000FA
	ds_read_b128 v[12:15], v250 offset:10240                   // 000000006194: D9FE2800 0C0000FA
	ds_read_b128 v[16:19], v250 offset:11264                   // 00000000619C: D9FE2C00 100000FA
	ds_read_b128 v[20:23], v250 offset:12288                   // 0000000061A4: D9FE3000 140000FA
	ds_read_b128 v[24:27], v250 offset:13312                   // 0000000061AC: D9FE3400 180000FA
	ds_read_b128 v[28:31], v250 offset:14336                   // 0000000061B4: D9FE3800 1C0000FA
	ds_read_b128 v[32:35], v250 offset:15360                   // 0000000061BC: D9FE3C00 200000FA
	ds_read_b128 v[36:39], v250 offset:16384                   // 0000000061C4: D9FE4000 240000FA
	ds_read_b128 v[40:43], v250 offset:17408                   // 0000000061CC: D9FE4400 280000FA
	ds_read_b128 v[44:47], v250 offset:18432                   // 0000000061D4: D9FE4800 2C0000FA
	ds_read_b128 v[48:51], v250 offset:19456                   // 0000000061DC: D9FE4C00 300000FA
	ds_read_b128 v[52:55], v250 offset:20480                   // 0000000061E4: D9FE5000 340000FA
	ds_read_b128 v[56:59], v250 offset:21504                   // 0000000061EC: D9FE5400 380000FA
	ds_read_b128 v[60:63], v250 offset:22528                   // 0000000061F4: D9FE5800 3C0000FA
	ds_read_b128 v[64:67], v250 offset:23552                   // 0000000061FC: D9FE5C00 400000FA
	s_waitcnt vmcnt(10)                                        // 000000006204: BF8C0F7A
	s_waitcnt vmcnt(63) expcnt(7) lgkmcnt(15)                  // 000000006208: BF8CCF7F
	v_mfma_f32_16x16x32_fp8_fp8 v[68:71], a[128:129], v[4:5], 0// 00000000620C: D3F30044 0A020980
	v_mfma_f32_16x16x32_fp8_fp8 v[72:75], a[144:145], v[4:5], 0// 000000006214: D3F30048 0A020990
	v_mfma_f32_16x16x32_fp8_fp8 v[68:71], a[130:131], v[6:7], v[68:71]// 00000000621C: D3F30044 0D120D82
	buffer_load_dwordx4 a[96:99], v227, s[16:19], 0 offen      // 000000006224: E05C1000 808460E3
	v_mfma_f32_16x16x32_fp8_fp8 v[72:75], a[146:147], v[6:7], v[72:75]// 00000000622C: D3F30048 0D220D92
	s_waitcnt lgkmcnt(14)                                      // 000000006234: BF8CCE7F
	v_mfma_f32_16x16x32_fp8_fp8 v[68:71], a[132:133], v[8:9], v[68:71]// 000000006238: D3F30044 0D121184
	v_mfma_f32_16x16x32_fp8_fp8 v[72:75], a[148:149], v[8:9], v[72:75]// 000000006240: D3F30048 0D221194
	v_mfma_f32_16x16x32_fp8_fp8 v[68:71], a[134:135], v[10:11], v[68:71]// 000000006248: D3F30044 0D121586
	buffer_load_dwordx4 a[100:103], v228, s[16:19], 0 offen    // 000000006250: E05C1000 808464E4
	v_mfma_f32_16x16x32_fp8_fp8 v[72:75], a[150:151], v[10:11], v[72:75]// 000000006258: D3F30048 0D221596
	s_waitcnt lgkmcnt(13)                                      // 000000006260: BF8CCD7F
	v_mfma_f32_16x16x32_fp8_fp8 v[68:71], a[136:137], v[12:13], v[68:71]// 000000006264: D3F30044 0D121988
	v_mfma_f32_16x16x32_fp8_fp8 v[72:75], a[152:153], v[12:13], v[72:75]// 00000000626C: D3F30048 0D221998
	v_mfma_f32_16x16x32_fp8_fp8 v[68:71], a[138:139], v[14:15], v[68:71]// 000000006274: D3F30044 0D121D8A
	buffer_load_dwordx4 a[104:107], v229, s[16:19], 0 offen    // 00000000627C: E05C1000 808468E5
	v_mfma_f32_16x16x32_fp8_fp8 v[72:75], a[154:155], v[14:15], v[72:75]// 000000006284: D3F30048 0D221D9A
	s_waitcnt lgkmcnt(12)                                      // 00000000628C: BF8CCC7F
	v_mfma_f32_16x16x32_fp8_fp8 v[68:71], a[140:141], v[16:17], v[68:71]// 000000006290: D3F30044 0D12218C
	v_mfma_f32_16x16x32_fp8_fp8 v[72:75], a[156:157], v[16:17], v[72:75]// 000000006298: D3F30048 0D22219C
	v_mfma_f32_16x16x32_fp8_fp8 v[68:71], a[142:143], v[18:19], v[68:71]// 0000000062A0: D3F30044 0D12258E
	buffer_load_dwordx4 a[108:111], v230, s[16:19], 0 offen    // 0000000062A8: E05C1000 80846CE6
	v_mfma_f32_16x16x32_fp8_fp8 v[72:75], a[158:159], v[18:19], v[72:75]// 0000000062B0: D3F30048 0D22259E
	s_waitcnt lgkmcnt(11)                                      // 0000000062B8: BF8CCB7F
	v_mfma_f32_16x16x32_fp8_fp8 v[76:79], a[128:129], v[20:21], 0// 0000000062BC: D3F3004C 0A022980
	v_mfma_f32_16x16x32_fp8_fp8 v[80:83], a[144:145], v[20:21], 0// 0000000062C4: D3F30050 0A022990
	v_mfma_f32_16x16x32_fp8_fp8 v[76:79], a[130:131], v[22:23], v[76:79]// 0000000062CC: D3F3004C 0D322D82
	buffer_load_dwordx4 a[112:115], v227, s[16:19], 0 offen offset:1024// 0000000062D4: E05C1400 808470E3
	v_mfma_f32_16x16x32_fp8_fp8 v[80:83], a[146:147], v[22:23], v[80:83]// 0000000062DC: D3F30050 0D422D92
	s_waitcnt lgkmcnt(10)                                      // 0000000062E4: BF8CCA7F
	v_mfma_f32_16x16x32_fp8_fp8 v[76:79], a[132:133], v[24:25], v[76:79]// 0000000062E8: D3F3004C 0D323184
	v_mfma_f32_16x16x32_fp8_fp8 v[80:83], a[148:149], v[24:25], v[80:83]// 0000000062F0: D3F30050 0D423194
	v_mfma_f32_16x16x32_fp8_fp8 v[76:79], a[134:135], v[26:27], v[76:79]// 0000000062F8: D3F3004C 0D323586
	buffer_load_dwordx4 a[116:119], v228, s[16:19], 0 offen offset:1024// 000000006300: E05C1400 808474E4
	v_mfma_f32_16x16x32_fp8_fp8 v[80:83], a[150:151], v[26:27], v[80:83]// 000000006308: D3F30050 0D423596
	s_waitcnt lgkmcnt(9)                                       // 000000006310: BF8CC97F
	v_mfma_f32_16x16x32_fp8_fp8 v[76:79], a[136:137], v[28:29], v[76:79]// 000000006314: D3F3004C 0D323988
	v_mfma_f32_16x16x32_fp8_fp8 v[80:83], a[152:153], v[28:29], v[80:83]// 00000000631C: D3F30050 0D423998
	v_mfma_f32_16x16x32_fp8_fp8 v[76:79], a[138:139], v[30:31], v[76:79]// 000000006324: D3F3004C 0D323D8A
	buffer_load_dwordx4 a[120:123], v229, s[16:19], 0 offen offset:1024// 00000000632C: E05C1400 808478E5
	v_mfma_f32_16x16x32_fp8_fp8 v[80:83], a[154:155], v[30:31], v[80:83]// 000000006334: D3F30050 0D423D9A
	s_waitcnt lgkmcnt(8)                                       // 00000000633C: BF8CC87F
	v_mfma_f32_16x16x32_fp8_fp8 v[76:79], a[140:141], v[32:33], v[76:79]// 000000006340: D3F3004C 0D32418C
	v_mfma_f32_16x16x32_fp8_fp8 v[80:83], a[156:157], v[32:33], v[80:83]// 000000006348: D3F30050 0D42419C
	v_mfma_f32_16x16x32_fp8_fp8 v[76:79], a[142:143], v[34:35], v[76:79]// 000000006350: D3F3004C 0D32458E
	buffer_load_dwordx4 a[124:127], v230, s[16:19], 0 offen offset:1024// 000000006358: E05C1400 80847CE6
	v_mfma_f32_16x16x32_fp8_fp8 v[80:83], a[158:159], v[34:35], v[80:83]// 000000006360: D3F30050 0D42459E
	s_waitcnt lgkmcnt(7)                                       // 000000006368: BF8CC77F
	v_mfma_f32_16x16x32_fp8_fp8 v[84:87], a[128:129], v[36:37], 0// 00000000636C: D3F30054 0A024980
	v_mfma_f32_16x16x32_fp8_fp8 v[88:91], a[144:145], v[36:37], 0// 000000006374: D3F30058 0A024990
	v_mfma_f32_16x16x32_fp8_fp8 v[84:87], a[130:131], v[38:39], v[84:87]// 00000000637C: D3F30054 0D524D82
	v_mfma_f32_16x16x32_fp8_fp8 v[88:91], a[146:147], v[38:39], v[88:91]// 000000006384: D3F30058 0D624D92
	s_waitcnt lgkmcnt(6)                                       // 00000000638C: BF8CC67F
	v_mfma_f32_16x16x32_fp8_fp8 v[84:87], a[132:133], v[40:41], v[84:87]// 000000006390: D3F30054 0D525184
	v_mfma_f32_16x16x32_fp8_fp8 v[88:91], a[148:149], v[40:41], v[88:91]// 000000006398: D3F30058 0D625194
	v_mfma_f32_16x16x32_fp8_fp8 v[84:87], a[134:135], v[42:43], v[84:87]// 0000000063A0: D3F30054 0D525586
	v_mfma_f32_16x16x32_fp8_fp8 v[88:91], a[150:151], v[42:43], v[88:91]// 0000000063A8: D3F30058 0D625596
	s_waitcnt lgkmcnt(5)                                       // 0000000063B0: BF8CC57F
	v_mfma_f32_16x16x32_fp8_fp8 v[84:87], a[136:137], v[44:45], v[84:87]// 0000000063B4: D3F30054 0D525988
	v_mfma_f32_16x16x32_fp8_fp8 v[88:91], a[152:153], v[44:45], v[88:91]// 0000000063BC: D3F30058 0D625998
	v_mfma_f32_16x16x32_fp8_fp8 v[84:87], a[138:139], v[46:47], v[84:87]// 0000000063C4: D3F30054 0D525D8A
	v_mfma_f32_16x16x32_fp8_fp8 v[88:91], a[154:155], v[46:47], v[88:91]// 0000000063CC: D3F30058 0D625D9A
	s_waitcnt lgkmcnt(4)                                       // 0000000063D4: BF8CC47F
	v_mfma_f32_16x16x32_fp8_fp8 v[84:87], a[140:141], v[48:49], v[84:87]// 0000000063D8: D3F30054 0D52618C
	v_mfma_f32_16x16x32_fp8_fp8 v[88:91], a[156:157], v[48:49], v[88:91]// 0000000063E0: D3F30058 0D62619C
	v_mfma_f32_16x16x32_fp8_fp8 v[84:87], a[142:143], v[50:51], v[84:87]// 0000000063E8: D3F30054 0D52658E
	v_mfma_f32_16x16x32_fp8_fp8 v[88:91], a[158:159], v[50:51], v[88:91]// 0000000063F0: D3F30058 0D62659E
	s_waitcnt lgkmcnt(3)                                       // 0000000063F8: BF8CC37F
	v_mfma_f32_16x16x32_fp8_fp8 v[92:95], a[128:129], v[52:53], 0// 0000000063FC: D3F3005C 0A026980
	v_mfma_f32_16x16x32_fp8_fp8 v[96:99], a[144:145], v[52:53], 0// 000000006404: D3F30060 0A026990
	v_mfma_f32_16x16x32_fp8_fp8 v[92:95], a[130:131], v[54:55], v[92:95]// 00000000640C: D3F3005C 0D726D82
	v_mfma_f32_16x16x32_fp8_fp8 v[96:99], a[146:147], v[54:55], v[96:99]// 000000006414: D3F30060 0D826D92
	s_waitcnt lgkmcnt(2)                                       // 00000000641C: BF8CC27F
	v_mfma_f32_16x16x32_fp8_fp8 v[92:95], a[132:133], v[56:57], v[92:95]// 000000006420: D3F3005C 0D727184
	v_mfma_f32_16x16x32_fp8_fp8 v[96:99], a[148:149], v[56:57], v[96:99]// 000000006428: D3F30060 0D827194
	v_mfma_f32_16x16x32_fp8_fp8 v[92:95], a[134:135], v[58:59], v[92:95]// 000000006430: D3F3005C 0D727586
	v_mfma_f32_16x16x32_fp8_fp8 v[96:99], a[150:151], v[58:59], v[96:99]// 000000006438: D3F30060 0D827596
	s_waitcnt lgkmcnt(1)                                       // 000000006440: BF8CC17F
	v_mfma_f32_16x16x32_fp8_fp8 v[92:95], a[136:137], v[60:61], v[92:95]// 000000006444: D3F3005C 0D727988
	v_mfma_f32_16x16x32_fp8_fp8 v[96:99], a[152:153], v[60:61], v[96:99]// 00000000644C: D3F30060 0D827998
	v_mfma_f32_16x16x32_fp8_fp8 v[92:95], a[138:139], v[62:63], v[92:95]// 000000006454: D3F3005C 0D727D8A
	v_mfma_f32_16x16x32_fp8_fp8 v[96:99], a[154:155], v[62:63], v[96:99]// 00000000645C: D3F30060 0D827D9A
	s_waitcnt lgkmcnt(0)                                       // 000000006464: BF8CC07F
	v_mfma_f32_16x16x32_fp8_fp8 v[92:95], a[140:141], v[64:65], v[92:95]// 000000006468: D3F3005C 0D72818C
	v_mfma_f32_16x16x32_fp8_fp8 v[96:99], a[156:157], v[64:65], v[96:99]// 000000006470: D3F30060 0D82819C
	v_mfma_f32_16x16x32_fp8_fp8 v[92:95], a[142:143], v[66:67], v[92:95]// 000000006478: D3F3005C 0D72858E
	v_mfma_f32_16x16x32_fp8_fp8 v[96:99], a[158:159], v[66:67], v[96:99]// 000000006480: D3F30060 0D82859E
	s_addk_i32 s64, 0x100                                      // 000000006488: B7400100
	s_branch label_04CE                                        // 00000000648C: BF82F52A

0000000000006490 <label_0FA4>:
	s_cmp_lt_i32 s64, s63                                      // 000000006490: BF043F40
	s_cbranch_scc0 label_1A7A                                  // 000000006494: BF840AD4
	s_waitcnt vmcnt(10)                                        // 000000006498: BF8C0F7A
	s_lshl_b32 s68, s76, 2                                     // 00000000649C: 8E44824C
	s_cmp_lt_u32 s76, s77                                      // 0000000064A0: BF0A4D4C
	s_cselect_b32 s68, s68, 0                                  // 0000000064A4: 85448044
	s_addk_i32 s76, 0x1                                        // 0000000064A8: B74C0001
	s_load_dword s59, s[42:43], s68                            // 0000000064AC: C0000ED5 00000044
	s_waitcnt lgkmcnt(0)                                       // 0000000064B4: BF8CC07F
	s_mul_i32 s69, s59, s50                                    // 0000000064B8: 9245323B
	s_mul_i32 s71, s59, s66                                    // 0000000064BC: 9247423B
	s_mul_i32 s54, s78, s51                                    // 0000000064C0: 9236334E
	s_add_u32 s69, s69, s54                                    // 0000000064C4: 80453645
	s_mov_b32 s70, s69                                         // 0000000064C8: BEC60045
	s_mul_i32 s54, s78, 4                                      // 0000000064CC: 9236844E
	s_add_u32 s71, s71, s54                                    // 0000000064D0: 80473647
	s_add_u32 s12, s86, s69                                    // 0000000064D4: 800C4556
	s_addc_u32 s13, s87, 0                                     // 0000000064D8: 820D8057
	s_add_u32 s16, s88, s70                                    // 0000000064DC: 80104658
	s_addc_u32 s17, s89, 0                                     // 0000000064E0: 82118059
	s_add_u32 s20, s90, s71                                    // 0000000064E4: 8014475A
	s_addc_u32 s21, s91, 0                                     // 0000000064E8: 8215805B
	s_add_u32 s24, s92, s71                                    // 0000000064EC: 8018475C
	s_addc_u32 s25, s93, 0                                     // 0000000064F0: 8219805D
	v_mfma_f32_16x16x32_fp8_fp8 v[4:7], a[32:33], a[0:1], 0    // 0000000064F4: D3F30004 1A020120
	v_mfma_f32_16x16x32_fp8_fp8 v[4:7], a[34:35], a[2:3], v[4:7]// 0000000064FC: D3F30004 1C120522
	v_mfma_f32_16x16x32_fp8_fp8 v[4:7], a[36:37], a[4:5], v[4:7]// 000000006504: D3F30004 1C120924
	buffer_load_dwordx4 a[64:67], v225, s[12:15], 0 offen      // 00000000650C: E05C1000 808340E1
	v_mfma_f32_16x16x32_fp8_fp8 v[4:7], a[38:39], a[6:7], v[4:7]// 000000006514: D3F30004 1C120D26
	v_mfma_f32_16x16x32_fp8_fp8 v[8:11], a[40:41], a[0:1], 0   // 00000000651C: D3F30008 1A020128
	v_mfma_f32_16x16x32_fp8_fp8 v[8:11], a[42:43], a[2:3], v[8:11]// 000000006524: D3F30008 1C22052A
	v_mfma_f32_16x16x32_fp8_fp8 v[8:11], a[44:45], a[4:5], v[8:11]// 00000000652C: D3F30008 1C22092C
	buffer_load_dwordx4 a[68:71], v226, s[12:15], 0 offen      // 000000006534: E05C1000 808344E2
	v_mfma_f32_16x16x32_fp8_fp8 v[8:11], a[46:47], a[6:7], v[8:11]// 00000000653C: D3F30008 1C220D2E
	v_mfma_f32_16x16x32_fp8_fp8 v[12:15], a[48:49], a[0:1], 0  // 000000006544: D3F3000C 1A020130
	v_mfma_f32_16x16x32_fp8_fp8 v[12:15], a[50:51], a[2:3], v[12:15]// 00000000654C: D3F3000C 1C320532
	v_mfma_f32_16x16x32_fp8_fp8 v[12:15], a[52:53], a[4:5], v[12:15]// 000000006554: D3F3000C 1C320934
	buffer_load_dwordx4 a[72:75], v225, s[12:15], 0 offen offset:1024// 00000000655C: E05C1400 808348E1
	v_mfma_f32_16x16x32_fp8_fp8 v[12:15], a[54:55], a[6:7], v[12:15]// 000000006564: D3F3000C 1C320D36
	v_mfma_f32_16x16x32_fp8_fp8 v[16:19], a[56:57], a[0:1], 0  // 00000000656C: D3F30010 1A020138
	v_mfma_f32_16x16x32_fp8_fp8 v[16:19], a[58:59], a[2:3], v[16:19]// 000000006574: D3F30010 1C42053A
	v_mfma_f32_16x16x32_fp8_fp8 v[16:19], a[60:61], a[4:5], v[16:19]// 00000000657C: D3F30010 1C42093C
	buffer_load_dwordx4 a[76:79], v226, s[12:15], 0 offen offset:1024// 000000006584: E05C1400 80834CE2
	v_mfma_f32_16x16x32_fp8_fp8 v[16:19], a[62:63], a[6:7], v[16:19]// 00000000658C: D3F30010 1C420D3E
	v_mfma_f32_16x16x32_fp8_fp8 v[20:23], a[32:33], a[8:9], 0  // 000000006594: D3F30014 1A021120
	v_mfma_f32_16x16x32_fp8_fp8 v[20:23], a[34:35], a[10:11], v[20:23]// 00000000659C: D3F30014 1C521522
	v_mfma_f32_16x16x32_fp8_fp8 v[20:23], a[36:37], a[12:13], v[20:23]// 0000000065A4: D3F30014 1C521924
	buffer_load_dwordx4 a[80:83], v225, s[12:15], 0 offen offset:2048// 0000000065AC: E05C1800 808350E1
	v_mfma_f32_16x16x32_fp8_fp8 v[20:23], a[38:39], a[14:15], v[20:23]// 0000000065B4: D3F30014 1C521D26
	v_mfma_f32_16x16x32_fp8_fp8 v[24:27], a[40:41], a[8:9], 0  // 0000000065BC: D3F30018 1A021128
	v_mfma_f32_16x16x32_fp8_fp8 v[24:27], a[42:43], a[10:11], v[24:27]// 0000000065C4: D3F30018 1C62152A
	v_mfma_f32_16x16x32_fp8_fp8 v[24:27], a[44:45], a[12:13], v[24:27]// 0000000065CC: D3F30018 1C62192C
	buffer_load_dwordx4 a[84:87], v226, s[12:15], 0 offen offset:2048// 0000000065D4: E05C1800 808354E2
	v_mfma_f32_16x16x32_fp8_fp8 v[24:27], a[46:47], a[14:15], v[24:27]// 0000000065DC: D3F30018 1C621D2E
	v_mfma_f32_16x16x32_fp8_fp8 v[28:31], a[48:49], a[8:9], 0  // 0000000065E4: D3F3001C 1A021130
	v_mfma_f32_16x16x32_fp8_fp8 v[28:31], a[50:51], a[10:11], v[28:31]// 0000000065EC: D3F3001C 1C721532
	v_mfma_f32_16x16x32_fp8_fp8 v[28:31], a[52:53], a[12:13], v[28:31]// 0000000065F4: D3F3001C 1C721934
	buffer_load_dwordx4 a[88:91], v225, s[12:15], 0 offen offset:3072// 0000000065FC: E05C1C00 808358E1
	v_mfma_f32_16x16x32_fp8_fp8 v[28:31], a[54:55], a[14:15], v[28:31]// 000000006604: D3F3001C 1C721D36
	v_mfma_f32_16x16x32_fp8_fp8 v[32:35], a[56:57], a[8:9], 0  // 00000000660C: D3F30020 1A021138
	v_mfma_f32_16x16x32_fp8_fp8 v[32:35], a[58:59], a[10:11], v[32:35]// 000000006614: D3F30020 1C82153A
	v_mfma_f32_16x16x32_fp8_fp8 v[32:35], a[60:61], a[12:13], v[32:35]// 00000000661C: D3F30020 1C82193C
	buffer_load_dwordx4 a[92:95], v226, s[12:15], 0 offen offset:3072// 000000006624: E05C1C00 80835CE2
	v_mfma_f32_16x16x32_fp8_fp8 v[32:35], a[62:63], a[14:15], v[32:35]// 00000000662C: D3F30020 1C821D3E
	v_mfma_f32_16x16x32_fp8_fp8 v[36:39], a[32:33], a[16:17], 0// 000000006634: D3F30024 1A022120
	v_mfma_f32_16x16x32_fp8_fp8 v[36:39], a[34:35], a[18:19], v[36:39]// 00000000663C: D3F30024 1C922522
	v_mfma_f32_16x16x32_fp8_fp8 v[36:39], a[36:37], a[20:21], v[36:39]// 000000006644: D3F30024 1C922924
	v_mfma_f32_16x16x32_fp8_fp8 v[36:39], a[38:39], a[22:23], v[36:39]// 00000000664C: D3F30024 1C922D26
	v_mfma_f32_16x16x32_fp8_fp8 v[40:43], a[40:41], a[16:17], 0// 000000006654: D3F30028 1A022128
	v_mfma_f32_16x16x32_fp8_fp8 v[40:43], a[42:43], a[18:19], v[40:43]// 00000000665C: D3F30028 1CA2252A
	v_mfma_f32_16x16x32_fp8_fp8 v[40:43], a[44:45], a[20:21], v[40:43]// 000000006664: D3F30028 1CA2292C
	v_mfma_f32_16x16x32_fp8_fp8 v[40:43], a[46:47], a[22:23], v[40:43]// 00000000666C: D3F30028 1CA22D2E
	v_mfma_f32_16x16x32_fp8_fp8 v[44:47], a[48:49], a[16:17], 0// 000000006674: D3F3002C 1A022130
	v_mfma_f32_16x16x32_fp8_fp8 v[44:47], a[50:51], a[18:19], v[44:47]// 00000000667C: D3F3002C 1CB22532
	v_mfma_f32_16x16x32_fp8_fp8 v[44:47], a[52:53], a[20:21], v[44:47]// 000000006684: D3F3002C 1CB22934
	v_mfma_f32_16x16x32_fp8_fp8 v[44:47], a[54:55], a[22:23], v[44:47]// 00000000668C: D3F3002C 1CB22D36
	v_mfma_f32_16x16x32_fp8_fp8 v[48:51], a[56:57], a[16:17], 0// 000000006694: D3F30030 1A022138
	v_mfma_f32_16x16x32_fp8_fp8 v[48:51], a[58:59], a[18:19], v[48:51]// 00000000669C: D3F30030 1CC2253A
	v_mfma_f32_16x16x32_fp8_fp8 v[48:51], a[60:61], a[20:21], v[48:51]// 0000000066A4: D3F30030 1CC2293C
	v_mfma_f32_16x16x32_fp8_fp8 v[48:51], a[62:63], a[22:23], v[48:51]// 0000000066AC: D3F30030 1CC22D3E
	v_mfma_f32_16x16x32_fp8_fp8 v[52:55], a[32:33], a[24:25], 0// 0000000066B4: D3F30034 1A023120
	v_mfma_f32_16x16x32_fp8_fp8 v[52:55], a[34:35], a[26:27], v[52:55]// 0000000066BC: D3F30034 1CD23522
	v_mfma_f32_16x16x32_fp8_fp8 v[52:55], a[36:37], a[28:29], v[52:55]// 0000000066C4: D3F30034 1CD23924
	v_mfma_f32_16x16x32_fp8_fp8 v[52:55], a[38:39], a[30:31], v[52:55]// 0000000066CC: D3F30034 1CD23D26
	v_mfma_f32_16x16x32_fp8_fp8 v[56:59], a[40:41], a[24:25], 0// 0000000066D4: D3F30038 1A023128
	v_mfma_f32_16x16x32_fp8_fp8 v[56:59], a[42:43], a[26:27], v[56:59]// 0000000066DC: D3F30038 1CE2352A
	v_mfma_f32_16x16x32_fp8_fp8 v[56:59], a[44:45], a[28:29], v[56:59]// 0000000066E4: D3F30038 1CE2392C
	v_mfma_f32_16x16x32_fp8_fp8 v[56:59], a[46:47], a[30:31], v[56:59]// 0000000066EC: D3F30038 1CE23D2E
	v_mfma_f32_16x16x32_fp8_fp8 v[60:63], a[48:49], a[24:25], 0// 0000000066F4: D3F3003C 1A023130
	v_mfma_f32_16x16x32_fp8_fp8 v[60:63], a[50:51], a[26:27], v[60:63]// 0000000066FC: D3F3003C 1CF23532
	v_mfma_f32_16x16x32_fp8_fp8 v[60:63], a[52:53], a[28:29], v[60:63]// 000000006704: D3F3003C 1CF23934
	v_mfma_f32_16x16x32_fp8_fp8 v[60:63], a[54:55], a[30:31], v[60:63]// 00000000670C: D3F3003C 1CF23D36
	v_mfma_f32_16x16x32_fp8_fp8 v[64:67], a[56:57], a[24:25], 0// 000000006714: D3F30040 1A023138
	v_mfma_f32_16x16x32_fp8_fp8 v[64:67], a[58:59], a[26:27], v[64:67]// 00000000671C: D3F30040 1D02353A
	v_mfma_f32_16x16x32_fp8_fp8 v[64:67], a[60:61], a[28:29], v[64:67]// 000000006724: D3F30040 1D02393C
	v_mfma_f32_16x16x32_fp8_fp8 v[64:67], a[62:63], a[30:31], v[64:67]// 00000000672C: D3F30040 1D023D3E
	s_waitcnt vmcnt(16)                                        // 000000006734: BF8C4F70
	v_pk_mul_f32 v[4:5], v[132:133], v[4:5]                    // 000000006738: D3B14004 18020984
	v_pk_mul_f32 v[6:7], v[132:133], v[6:7]                    // 000000006740: D3B14006 18020D84
	v_mul_f32_dpp v4, v140, v4 row_newbcast:0 row_mask:0xf bank_mask:0xf// 000000006748: 0A0808FA FF01508C
	v_mul_f32_dpp v5, v140, v5 row_newbcast:1 row_mask:0xf bank_mask:0xf// 000000006750: 0A0A0AFA FF01518C
	v_mul_f32_dpp v6, v140, v6 row_newbcast:2 row_mask:0xf bank_mask:0xf// 000000006758: 0A0C0CFA FF01528C
	v_mul_f32_dpp v7, v140, v7 row_newbcast:3 row_mask:0xf bank_mask:0xf// 000000006760: 0A0E0EFA FF01538C
	v_pk_mul_f32 v[8:9], v[132:133], v[8:9]                    // 000000006768: D3B14008 18021184
	v_pk_mul_f32 v[10:11], v[132:133], v[10:11]                // 000000006770: D3B1400A 18021584
	v_mul_f32_dpp v8, v140, v8 row_newbcast:4 row_mask:0xf bank_mask:0xf// 000000006778: 0A1010FA FF01548C
	v_mul_f32_dpp v9, v140, v9 row_newbcast:5 row_mask:0xf bank_mask:0xf// 000000006780: 0A1212FA FF01558C
	v_mul_f32_dpp v10, v140, v10 row_newbcast:6 row_mask:0xf bank_mask:0xf// 000000006788: 0A1414FA FF01568C
	v_mul_f32_dpp v11, v140, v11 row_newbcast:7 row_mask:0xf bank_mask:0xf// 000000006790: 0A1616FA FF01578C
	v_pk_mul_f32 v[12:13], v[132:133], v[12:13]                // 000000006798: D3B1400C 18021984
	v_pk_mul_f32 v[14:15], v[132:133], v[14:15]                // 0000000067A0: D3B1400E 18021D84
	v_mul_f32_dpp v12, v140, v12 row_newbcast:8 row_mask:0xf bank_mask:0xf// 0000000067A8: 0A1818FA FF01588C
	v_mul_f32_dpp v13, v140, v13 row_newbcast:9 row_mask:0xf bank_mask:0xf// 0000000067B0: 0A1A1AFA FF01598C
	v_mul_f32_dpp v14, v140, v14 row_newbcast:10 row_mask:0xf bank_mask:0xf// 0000000067B8: 0A1C1CFA FF015A8C
	v_mul_f32_dpp v15, v140, v15 row_newbcast:11 row_mask:0xf bank_mask:0xf// 0000000067C0: 0A1E1EFA FF015B8C
	v_pk_mul_f32 v[16:17], v[132:133], v[16:17]                // 0000000067C8: D3B14010 18022184
	v_pk_mul_f32 v[18:19], v[132:133], v[18:19]                // 0000000067D0: D3B14012 18022584
	v_mul_f32_dpp v16, v140, v16 row_newbcast:12 row_mask:0xf bank_mask:0xf// 0000000067D8: 0A2020FA FF015C8C
	v_mul_f32_dpp v17, v140, v17 row_newbcast:13 row_mask:0xf bank_mask:0xf// 0000000067E0: 0A2222FA FF015D8C
	v_mul_f32_dpp v18, v140, v18 row_newbcast:14 row_mask:0xf bank_mask:0xf// 0000000067E8: 0A2424FA FF015E8C
	v_mul_f32_dpp v19, v140, v19 row_newbcast:15 row_mask:0xf bank_mask:0xf// 0000000067F0: 0A2626FA FF015F8C
	v_pk_mul_f32 v[20:21], v[134:135], v[20:21]                // 0000000067F8: D3B14014 18022986
	v_pk_mul_f32 v[22:23], v[134:135], v[22:23]                // 000000006800: D3B14016 18022D86
	v_mul_f32_dpp v20, v140, v20 row_newbcast:0 row_mask:0xf bank_mask:0xf// 000000006808: 0A2828FA FF01508C
	v_mul_f32_dpp v21, v140, v21 row_newbcast:1 row_mask:0xf bank_mask:0xf// 000000006810: 0A2A2AFA FF01518C
	v_mul_f32_dpp v22, v140, v22 row_newbcast:2 row_mask:0xf bank_mask:0xf// 000000006818: 0A2C2CFA FF01528C
	v_mul_f32_dpp v23, v140, v23 row_newbcast:3 row_mask:0xf bank_mask:0xf// 000000006820: 0A2E2EFA FF01538C
	v_pk_mul_f32 v[24:25], v[134:135], v[24:25]                // 000000006828: D3B14018 18023186
	v_pk_mul_f32 v[26:27], v[134:135], v[26:27]                // 000000006830: D3B1401A 18023586
	v_mul_f32_dpp v24, v140, v24 row_newbcast:4 row_mask:0xf bank_mask:0xf// 000000006838: 0A3030FA FF01548C
	v_mul_f32_dpp v25, v140, v25 row_newbcast:5 row_mask:0xf bank_mask:0xf// 000000006840: 0A3232FA FF01558C
	v_mul_f32_dpp v26, v140, v26 row_newbcast:6 row_mask:0xf bank_mask:0xf// 000000006848: 0A3434FA FF01568C
	v_mul_f32_dpp v27, v140, v27 row_newbcast:7 row_mask:0xf bank_mask:0xf// 000000006850: 0A3636FA FF01578C
	v_pk_mul_f32 v[28:29], v[134:135], v[28:29]                // 000000006858: D3B1401C 18023986
	v_pk_mul_f32 v[30:31], v[134:135], v[30:31]                // 000000006860: D3B1401E 18023D86
	v_mul_f32_dpp v28, v140, v28 row_newbcast:8 row_mask:0xf bank_mask:0xf// 000000006868: 0A3838FA FF01588C
	v_mul_f32_dpp v29, v140, v29 row_newbcast:9 row_mask:0xf bank_mask:0xf// 000000006870: 0A3A3AFA FF01598C
	v_mul_f32_dpp v30, v140, v30 row_newbcast:10 row_mask:0xf bank_mask:0xf// 000000006878: 0A3C3CFA FF015A8C
	v_mul_f32_dpp v31, v140, v31 row_newbcast:11 row_mask:0xf bank_mask:0xf// 000000006880: 0A3E3EFA FF015B8C
	v_pk_mul_f32 v[32:33], v[134:135], v[32:33]                // 000000006888: D3B14020 18024186
	v_pk_mul_f32 v[34:35], v[134:135], v[34:35]                // 000000006890: D3B14022 18024586
	v_mul_f32_dpp v32, v140, v32 row_newbcast:12 row_mask:0xf bank_mask:0xf// 000000006898: 0A4040FA FF015C8C
	v_mul_f32_dpp v33, v140, v33 row_newbcast:13 row_mask:0xf bank_mask:0xf// 0000000068A0: 0A4242FA FF015D8C
	v_mul_f32_dpp v34, v140, v34 row_newbcast:14 row_mask:0xf bank_mask:0xf// 0000000068A8: 0A4444FA FF015E8C
	v_mul_f32_dpp v35, v140, v35 row_newbcast:15 row_mask:0xf bank_mask:0xf// 0000000068B0: 0A4646FA FF015F8C
	v_pk_mul_f32 v[36:37], v[136:137], v[36:37]                // 0000000068B8: D3B14024 18024988
	v_pk_mul_f32 v[38:39], v[136:137], v[38:39]                // 0000000068C0: D3B14026 18024D88
	v_mul_f32_dpp v36, v140, v36 row_newbcast:0 row_mask:0xf bank_mask:0xf// 0000000068C8: 0A4848FA FF01508C
	v_mul_f32_dpp v37, v140, v37 row_newbcast:1 row_mask:0xf bank_mask:0xf// 0000000068D0: 0A4A4AFA FF01518C
	v_mul_f32_dpp v38, v140, v38 row_newbcast:2 row_mask:0xf bank_mask:0xf// 0000000068D8: 0A4C4CFA FF01528C
	v_mul_f32_dpp v39, v140, v39 row_newbcast:3 row_mask:0xf bank_mask:0xf// 0000000068E0: 0A4E4EFA FF01538C
	v_pk_mul_f32 v[40:41], v[136:137], v[40:41]                // 0000000068E8: D3B14028 18025188
	v_pk_mul_f32 v[42:43], v[136:137], v[42:43]                // 0000000068F0: D3B1402A 18025588
	v_mul_f32_dpp v40, v140, v40 row_newbcast:4 row_mask:0xf bank_mask:0xf// 0000000068F8: 0A5050FA FF01548C
	v_mul_f32_dpp v41, v140, v41 row_newbcast:5 row_mask:0xf bank_mask:0xf// 000000006900: 0A5252FA FF01558C
	v_mul_f32_dpp v42, v140, v42 row_newbcast:6 row_mask:0xf bank_mask:0xf// 000000006908: 0A5454FA FF01568C
	v_mul_f32_dpp v43, v140, v43 row_newbcast:7 row_mask:0xf bank_mask:0xf// 000000006910: 0A5656FA FF01578C
	v_pk_mul_f32 v[44:45], v[136:137], v[44:45]                // 000000006918: D3B1402C 18025988
	v_pk_mul_f32 v[46:47], v[136:137], v[46:47]                // 000000006920: D3B1402E 18025D88
	v_mul_f32_dpp v44, v140, v44 row_newbcast:8 row_mask:0xf bank_mask:0xf// 000000006928: 0A5858FA FF01588C
	v_mul_f32_dpp v45, v140, v45 row_newbcast:9 row_mask:0xf bank_mask:0xf// 000000006930: 0A5A5AFA FF01598C
	v_mul_f32_dpp v46, v140, v46 row_newbcast:10 row_mask:0xf bank_mask:0xf// 000000006938: 0A5C5CFA FF015A8C
	v_mul_f32_dpp v47, v140, v47 row_newbcast:11 row_mask:0xf bank_mask:0xf// 000000006940: 0A5E5EFA FF015B8C
	v_pk_mul_f32 v[48:49], v[136:137], v[48:49]                // 000000006948: D3B14030 18026188
	v_pk_mul_f32 v[50:51], v[136:137], v[50:51]                // 000000006950: D3B14032 18026588
	v_mul_f32_dpp v48, v140, v48 row_newbcast:12 row_mask:0xf bank_mask:0xf// 000000006958: 0A6060FA FF015C8C
	v_mul_f32_dpp v49, v140, v49 row_newbcast:13 row_mask:0xf bank_mask:0xf// 000000006960: 0A6262FA FF015D8C
	v_mul_f32_dpp v50, v140, v50 row_newbcast:14 row_mask:0xf bank_mask:0xf// 000000006968: 0A6464FA FF015E8C
	v_mul_f32_dpp v51, v140, v51 row_newbcast:15 row_mask:0xf bank_mask:0xf// 000000006970: 0A6666FA FF015F8C
	v_pk_mul_f32 v[52:53], v[138:139], v[52:53]                // 000000006978: D3B14034 1802698A
	v_pk_mul_f32 v[54:55], v[138:139], v[54:55]                // 000000006980: D3B14036 18026D8A
	v_mul_f32_dpp v52, v140, v52 row_newbcast:0 row_mask:0xf bank_mask:0xf// 000000006988: 0A6868FA FF01508C
	v_mul_f32_dpp v53, v140, v53 row_newbcast:1 row_mask:0xf bank_mask:0xf// 000000006990: 0A6A6AFA FF01518C
	v_mul_f32_dpp v54, v140, v54 row_newbcast:2 row_mask:0xf bank_mask:0xf// 000000006998: 0A6C6CFA FF01528C
	v_mul_f32_dpp v55, v140, v55 row_newbcast:3 row_mask:0xf bank_mask:0xf// 0000000069A0: 0A6E6EFA FF01538C
	v_pk_mul_f32 v[56:57], v[138:139], v[56:57]                // 0000000069A8: D3B14038 1802718A
	v_pk_mul_f32 v[58:59], v[138:139], v[58:59]                // 0000000069B0: D3B1403A 1802758A
	v_mul_f32_dpp v56, v140, v56 row_newbcast:4 row_mask:0xf bank_mask:0xf// 0000000069B8: 0A7070FA FF01548C
	v_mul_f32_dpp v57, v140, v57 row_newbcast:5 row_mask:0xf bank_mask:0xf// 0000000069C0: 0A7272FA FF01558C
	v_mul_f32_dpp v58, v140, v58 row_newbcast:6 row_mask:0xf bank_mask:0xf// 0000000069C8: 0A7474FA FF01568C
	v_mul_f32_dpp v59, v140, v59 row_newbcast:7 row_mask:0xf bank_mask:0xf// 0000000069D0: 0A7676FA FF01578C
	v_pk_mul_f32 v[60:61], v[138:139], v[60:61]                // 0000000069D8: D3B1403C 1802798A
	v_pk_mul_f32 v[62:63], v[138:139], v[62:63]                // 0000000069E0: D3B1403E 18027D8A
	v_mul_f32_dpp v60, v140, v60 row_newbcast:8 row_mask:0xf bank_mask:0xf// 0000000069E8: 0A7878FA FF01588C
	v_mul_f32_dpp v61, v140, v61 row_newbcast:9 row_mask:0xf bank_mask:0xf// 0000000069F0: 0A7A7AFA FF01598C
	v_mul_f32_dpp v62, v140, v62 row_newbcast:10 row_mask:0xf bank_mask:0xf// 0000000069F8: 0A7C7CFA FF015A8C
	v_mul_f32_dpp v63, v140, v63 row_newbcast:11 row_mask:0xf bank_mask:0xf// 000000006A00: 0A7E7EFA FF015B8C
	v_pk_mul_f32 v[64:65], v[138:139], v[64:65]                // 000000006A08: D3B14040 1802818A
	v_pk_mul_f32 v[66:67], v[138:139], v[66:67]                // 000000006A10: D3B14042 1802858A
	v_mul_f32_dpp v64, v140, v64 row_newbcast:12 row_mask:0xf bank_mask:0xf// 000000006A18: 0A8080FA FF015C8C
	v_mul_f32_dpp v65, v140, v65 row_newbcast:13 row_mask:0xf bank_mask:0xf// 000000006A20: 0A8282FA FF015D8C
	v_mul_f32_dpp v66, v140, v66 row_newbcast:14 row_mask:0xf bank_mask:0xf// 000000006A28: 0A8484FA FF015E8C
	v_mul_f32_dpp v67, v140, v67 row_newbcast:15 row_mask:0xf bank_mask:0xf// 000000006A30: 0A8686FA FF015F8C
	v_mov_b32_e32 v176, v4                                     // 000000006A38: 7F600304
	v_max3_f32 v176, v4, v5, v176                              // 000000006A3C: D1D300B0 06C20B04
	v_max3_f32 v176, v6, v7, v176                              // 000000006A44: D1D300B0 06C20F06
	v_max3_f32 v176, v8, v9, v176                              // 000000006A4C: D1D300B0 06C21308
	v_max3_f32 v176, v10, v11, v176                            // 000000006A54: D1D300B0 06C2170A
	v_max3_f32 v176, v12, v13, v176                            // 000000006A5C: D1D300B0 06C21B0C
	v_max3_f32 v176, v14, v15, v176                            // 000000006A64: D1D300B0 06C21F0E
	v_max3_f32 v176, v16, v17, v176                            // 000000006A6C: D1D300B0 06C22310
	v_max3_f32 v176, v18, v19, v176                            // 000000006A74: D1D300B0 06C22712
	v_mov_b32_e32 v177, v20                                    // 000000006A7C: 7F620314
	v_max3_f32 v177, v20, v21, v177                            // 000000006A80: D1D300B1 06C62B14
	v_max3_f32 v177, v22, v23, v177                            // 000000006A88: D1D300B1 06C62F16
	v_max3_f32 v177, v24, v25, v177                            // 000000006A90: D1D300B1 06C63318
	v_max3_f32 v177, v26, v27, v177                            // 000000006A98: D1D300B1 06C6371A
	v_max3_f32 v177, v28, v29, v177                            // 000000006AA0: D1D300B1 06C63B1C
	v_max3_f32 v177, v30, v31, v177                            // 000000006AA8: D1D300B1 06C63F1E
	v_max3_f32 v177, v32, v33, v177                            // 000000006AB0: D1D300B1 06C64320
	v_max3_f32 v177, v34, v35, v177                            // 000000006AB8: D1D300B1 06C64722
	v_mov_b32_e32 v178, v36                                    // 000000006AC0: 7F640324
	v_max3_f32 v178, v36, v37, v178                            // 000000006AC4: D1D300B2 06CA4B24
	v_max3_f32 v178, v38, v39, v178                            // 000000006ACC: D1D300B2 06CA4F26
	v_max3_f32 v178, v40, v41, v178                            // 000000006AD4: D1D300B2 06CA5328
	v_max3_f32 v178, v42, v43, v178                            // 000000006ADC: D1D300B2 06CA572A
	v_max3_f32 v178, v44, v45, v178                            // 000000006AE4: D1D300B2 06CA5B2C
	v_max3_f32 v178, v46, v47, v178                            // 000000006AEC: D1D300B2 06CA5F2E
	v_max3_f32 v178, v48, v49, v178                            // 000000006AF4: D1D300B2 06CA6330
	v_max3_f32 v178, v50, v51, v178                            // 000000006AFC: D1D300B2 06CA6732
	v_mov_b32_e32 v179, v52                                    // 000000006B04: 7F660334
	v_max3_f32 v179, v52, v53, v179                            // 000000006B08: D1D300B3 06CE6B34
	v_max3_f32 v179, v54, v55, v179                            // 000000006B10: D1D300B3 06CE6F36
	v_max3_f32 v179, v56, v57, v179                            // 000000006B18: D1D300B3 06CE7338
	v_max3_f32 v179, v58, v59, v179                            // 000000006B20: D1D300B3 06CE773A
	v_max3_f32 v179, v60, v61, v179                            // 000000006B28: D1D300B3 06CE7B3C
	v_max3_f32 v179, v62, v63, v179                            // 000000006B30: D1D300B3 06CE7F3E
	v_max3_f32 v179, v64, v65, v179                            // 000000006B38: D1D300B3 06CE8340
	v_max3_f32 v179, v66, v67, v179                            // 000000006B40: D1D300B3 06CE8742
	v_pk_mul_f32 v[100:101], v[160:161], v[100:101]            // 000000006B48: D3B14064 1802C9A0
	v_pk_mul_f32 v[102:103], v[160:161], v[102:103]            // 000000006B50: D3B14066 1802CDA0
	v_pk_mul_f32 v[104:105], v[160:161], v[104:105]            // 000000006B58: D3B14068 1802D1A0
	v_pk_mul_f32 v[106:107], v[160:161], v[106:107]            // 000000006B60: D3B1406A 1802D5A0
	v_pk_mul_f32 v[108:109], v[162:163], v[108:109]            // 000000006B68: D3B1406C 1802D9A2
	v_pk_mul_f32 v[110:111], v[162:163], v[110:111]            // 000000006B70: D3B1406E 1802DDA2
	v_pk_mul_f32 v[112:113], v[162:163], v[112:113]            // 000000006B78: D3B14070 1802E1A2
	v_pk_mul_f32 v[114:115], v[162:163], v[114:115]            // 000000006B80: D3B14072 1802E5A2
	v_pk_mul_f32 v[116:117], v[164:165], v[116:117]            // 000000006B88: D3B14074 1802E9A4
	v_pk_mul_f32 v[118:119], v[164:165], v[118:119]            // 000000006B90: D3B14076 1802EDA4
	v_pk_mul_f32 v[120:121], v[164:165], v[120:121]            // 000000006B98: D3B14078 1802F1A4
	v_pk_mul_f32 v[122:123], v[164:165], v[122:123]            // 000000006BA0: D3B1407A 1802F5A4
	v_pk_mul_f32 v[124:125], v[166:167], v[124:125]            // 000000006BA8: D3B1407C 1802F9A6
	v_pk_mul_f32 v[126:127], v[166:167], v[126:127]            // 000000006BB0: D3B1407E 1802FDA6
	v_pk_mul_f32 v[128:129], v[166:167], v[128:129]            // 000000006BB8: D3B14080 180301A6
	v_pk_mul_f32 v[130:131], v[166:167], v[130:131]            // 000000006BC0: D3B14082 180305A6
	ds_bpermute_b32 v180, v200, v176                           // 000000006BC8: D87E0000 B400B0C8
	ds_bpermute_b32 v181, v201, v176                           // 000000006BD0: D87E0000 B500B0C9
	ds_bpermute_b32 v182, v202, v176                           // 000000006BD8: D87E0000 B600B0CA
	ds_bpermute_b32 v183, v200, v177                           // 000000006BE0: D87E0000 B700B1C8
	ds_bpermute_b32 v184, v201, v177                           // 000000006BE8: D87E0000 B800B1C9
	ds_bpermute_b32 v185, v202, v177                           // 000000006BF0: D87E0000 B900B1CA
	ds_bpermute_b32 v186, v200, v178                           // 000000006BF8: D87E0000 BA00B2C8
	ds_bpermute_b32 v187, v201, v178                           // 000000006C00: D87E0000 BB00B2C9
	ds_bpermute_b32 v188, v202, v178                           // 000000006C08: D87E0000 BC00B2CA
	ds_bpermute_b32 v189, v200, v179                           // 000000006C10: D87E0000 BD00B3C8
	ds_bpermute_b32 v190, v201, v179                           // 000000006C18: D87E0000 BE00B3C9
	ds_bpermute_b32 v191, v202, v179                           // 000000006C20: D87E0000 BF00B3CA
	s_waitcnt lgkmcnt(9)                                       // 000000006C28: BF8CC97F
	v_max3_f32 v176, v180, v181, v176                          // 000000006C2C: D1D300B0 06C36BB4
	v_max_f32_e32 v176, v182, v176                             // 000000006C34: 176161B6
	s_waitcnt lgkmcnt(6)                                       // 000000006C38: BF8CC67F
	v_max3_f32 v177, v183, v184, v177                          // 000000006C3C: D1D300B1 06C771B7
	v_max_f32_e32 v177, v185, v177                             // 000000006C44: 176363B9
	s_waitcnt lgkmcnt(3)                                       // 000000006C48: BF8CC37F
	v_max3_f32 v178, v186, v187, v178                          // 000000006C4C: D1D300B2 06CB77BA
	v_max_f32_e32 v178, v188, v178                             // 000000006C54: 176565BC
	s_waitcnt lgkmcnt(0)                                       // 000000006C58: BF8CC07F
	v_max3_f32 v179, v189, v190, v179                          // 000000006C5C: D1D300B3 06CF7DBD
	v_max_f32_e32 v179, v191, v179                             // 000000006C64: 176767BF
	ds_write_b128 v247, v[176:179]                             // 000000006C68: D9BE0000 0000B0F7
	s_waitcnt lgkmcnt(0)                                       // 000000006C70: BF8CC07F
	s_barrier                                                  // 000000006C74: BF8A0000
	v_pk_mul_f32 v[68:69], v[144:145], v[68:69]                // 000000006C78: D3B14044 18028990
	v_pk_mul_f32 v[70:71], v[144:145], v[70:71]                // 000000006C80: D3B14046 18028D90
	v_pk_mul_f32 v[72:73], v[144:145], v[72:73]                // 000000006C88: D3B14048 18029190
	v_pk_mul_f32 v[74:75], v[144:145], v[74:75]                // 000000006C90: D3B1404A 18029590
	v_pk_mul_f32 v[76:77], v[146:147], v[76:77]                // 000000006C98: D3B1404C 18029992
	v_pk_mul_f32 v[78:79], v[146:147], v[78:79]                // 000000006CA0: D3B1404E 18029D92
	v_pk_mul_f32 v[80:81], v[146:147], v[80:81]                // 000000006CA8: D3B14050 1802A192
	v_pk_mul_f32 v[82:83], v[146:147], v[82:83]                // 000000006CB0: D3B14052 1802A592
	v_pk_mul_f32 v[84:85], v[148:149], v[84:85]                // 000000006CB8: D3B14054 1802A994
	v_pk_mul_f32 v[86:87], v[148:149], v[86:87]                // 000000006CC0: D3B14056 1802AD94
	v_pk_mul_f32 v[88:89], v[148:149], v[88:89]                // 000000006CC8: D3B14058 1802B194
	v_pk_mul_f32 v[90:91], v[148:149], v[90:91]                // 000000006CD0: D3B1405A 1802B594
	v_pk_mul_f32 v[92:93], v[150:151], v[92:93]                // 000000006CD8: D3B1405C 1802B996
	v_pk_mul_f32 v[94:95], v[150:151], v[94:95]                // 000000006CE0: D3B1405E 1802BD96
	v_pk_mul_f32 v[96:97], v[150:151], v[96:97]                // 000000006CE8: D3B14060 1802C196
	v_pk_mul_f32 v[98:99], v[150:151], v[98:99]                // 000000006CF0: D3B14062 1802C596
	ds_read_b128 v[180:183], v248                              // 000000006CF8: D9FE0000 B40000F8
	ds_read_b128 v[184:187], v248 offset:256                   // 000000006D00: D9FE0100 B80000F8
	ds_read_b128 v[188:191], v248 offset:512                   // 000000006D08: D9FE0200 BC0000F8
	ds_read_b128 v[192:195], v248 offset:768                   // 000000006D10: D9FE0300 C00000F8
	s_waitcnt lgkmcnt(0)                                       // 000000006D18: BF8CC07F
	v_max3_f32 v176, v180, v184, v176                          // 000000006D1C: D1D300B0 06C371B4
	v_max3_f32 v177, v181, v185, v177                          // 000000006D24: D1D300B1 06C773B5
	v_max3_f32 v178, v182, v186, v178                          // 000000006D2C: D1D300B2 06CB75B6
	v_max3_f32 v179, v183, v187, v179                          // 000000006D34: D1D300B3 06CF77B7
	v_max3_f32 v176, v188, v192, v176                          // 000000006D3C: D1D300B0 06C381BC
	v_max3_f32 v177, v189, v193, v177                          // 000000006D44: D1D300B1 06C783BD
	v_max3_f32 v178, v190, v194, v178                          // 000000006D4C: D1D300B2 06CB85BE
	v_max3_f32 v179, v191, v195, v179                          // 000000006D54: D1D300B3 06CF87BF
	v_max_f32_e32 v156, v176, v152                             // 000000006D5C: 173931B0
	v_mul_f32_e64 v196, -s46, v156                             // 000000006D60: D10500C4 2003382E
	v_mov_b32_e32 v197, v196                                   // 000000006D68: 7F8A03C4
	v_pk_fma_f32 v[4:5], v[4:5], s[46:47], v[196:197]          // 000000006D6C: D3B04004 1F105D04
	v_pk_fma_f32 v[6:7], v[6:7], s[46:47], v[196:197]          // 000000006D74: D3B04006 1F105D06
	v_exp_f32_e32 v4, v4                                       // 000000006D7C: 7E084104
	v_exp_f32_e32 v5, v5                                       // 000000006D80: 7E0A4105
	v_exp_f32_e32 v6, v6                                       // 000000006D84: 7E0C4106
	v_exp_f32_e32 v7, v7                                       // 000000006D88: 7E0E4107
	v_pk_fma_f32 v[8:9], v[8:9], s[46:47], v[196:197]          // 000000006D8C: D3B04008 1F105D08
	v_pk_fma_f32 v[10:11], v[10:11], s[46:47], v[196:197]      // 000000006D94: D3B0400A 1F105D0A
	v_exp_f32_e32 v8, v8                                       // 000000006D9C: 7E104108
	v_exp_f32_e32 v9, v9                                       // 000000006DA0: 7E124109
	v_exp_f32_e32 v10, v10                                     // 000000006DA4: 7E14410A
	v_exp_f32_e32 v11, v11                                     // 000000006DA8: 7E16410B
	v_pk_fma_f32 v[12:13], v[12:13], s[46:47], v[196:197]      // 000000006DAC: D3B0400C 1F105D0C
	v_pk_fma_f32 v[14:15], v[14:15], s[46:47], v[196:197]      // 000000006DB4: D3B0400E 1F105D0E
	v_exp_f32_e32 v12, v12                                     // 000000006DBC: 7E18410C
	v_exp_f32_e32 v13, v13                                     // 000000006DC0: 7E1A410D
	v_exp_f32_e32 v14, v14                                     // 000000006DC4: 7E1C410E
	v_exp_f32_e32 v15, v15                                     // 000000006DC8: 7E1E410F
	v_pk_fma_f32 v[16:17], v[16:17], s[46:47], v[196:197]      // 000000006DCC: D3B04010 1F105D10
	v_pk_fma_f32 v[18:19], v[18:19], s[46:47], v[196:197]      // 000000006DD4: D3B04012 1F105D12
	v_exp_f32_e32 v16, v16                                     // 000000006DDC: 7E204110
	v_exp_f32_e32 v17, v17                                     // 000000006DE0: 7E224111
	v_exp_f32_e32 v18, v18                                     // 000000006DE4: 7E244112
	v_exp_f32_e32 v19, v19                                     // 000000006DE8: 7E264113
	v_max_f32_e32 v157, v177, v153                             // 000000006DEC: 173B33B1
	v_mul_f32_e64 v196, -s46, v157                             // 000000006DF0: D10500C4 20033A2E
	v_mov_b32_e32 v197, v196                                   // 000000006DF8: 7F8A03C4
	v_pk_fma_f32 v[20:21], v[20:21], s[46:47], v[196:197]      // 000000006DFC: D3B04014 1F105D14
	v_pk_fma_f32 v[22:23], v[22:23], s[46:47], v[196:197]      // 000000006E04: D3B04016 1F105D16
	v_exp_f32_e32 v20, v20                                     // 000000006E0C: 7E284114
	v_exp_f32_e32 v21, v21                                     // 000000006E10: 7E2A4115
	v_exp_f32_e32 v22, v22                                     // 000000006E14: 7E2C4116
	v_exp_f32_e32 v23, v23                                     // 000000006E18: 7E2E4117
	v_pk_fma_f32 v[24:25], v[24:25], s[46:47], v[196:197]      // 000000006E1C: D3B04018 1F105D18
	v_pk_fma_f32 v[26:27], v[26:27], s[46:47], v[196:197]      // 000000006E24: D3B0401A 1F105D1A
	v_exp_f32_e32 v24, v24                                     // 000000006E2C: 7E304118
	v_exp_f32_e32 v25, v25                                     // 000000006E30: 7E324119
	v_exp_f32_e32 v26, v26                                     // 000000006E34: 7E34411A
	v_exp_f32_e32 v27, v27                                     // 000000006E38: 7E36411B
	v_pk_fma_f32 v[28:29], v[28:29], s[46:47], v[196:197]      // 000000006E3C: D3B0401C 1F105D1C
	v_pk_fma_f32 v[30:31], v[30:31], s[46:47], v[196:197]      // 000000006E44: D3B0401E 1F105D1E
	v_exp_f32_e32 v28, v28                                     // 000000006E4C: 7E38411C
	v_exp_f32_e32 v29, v29                                     // 000000006E50: 7E3A411D
	v_exp_f32_e32 v30, v30                                     // 000000006E54: 7E3C411E
	v_exp_f32_e32 v31, v31                                     // 000000006E58: 7E3E411F
	v_pk_fma_f32 v[32:33], v[32:33], s[46:47], v[196:197]      // 000000006E5C: D3B04020 1F105D20
	v_pk_fma_f32 v[34:35], v[34:35], s[46:47], v[196:197]      // 000000006E64: D3B04022 1F105D22
	v_exp_f32_e32 v32, v32                                     // 000000006E6C: 7E404120
	v_exp_f32_e32 v33, v33                                     // 000000006E70: 7E424121
	v_exp_f32_e32 v34, v34                                     // 000000006E74: 7E444122
	v_exp_f32_e32 v35, v35                                     // 000000006E78: 7E464123
	v_max_f32_e32 v158, v178, v154                             // 000000006E7C: 173D35B2
	v_mul_f32_e64 v196, -s46, v158                             // 000000006E80: D10500C4 20033C2E
	v_mov_b32_e32 v197, v196                                   // 000000006E88: 7F8A03C4
	v_pk_fma_f32 v[36:37], v[36:37], s[46:47], v[196:197]      // 000000006E8C: D3B04024 1F105D24
	v_pk_fma_f32 v[38:39], v[38:39], s[46:47], v[196:197]      // 000000006E94: D3B04026 1F105D26
	v_exp_f32_e32 v36, v36                                     // 000000006E9C: 7E484124
	v_exp_f32_e32 v37, v37                                     // 000000006EA0: 7E4A4125
	v_exp_f32_e32 v38, v38                                     // 000000006EA4: 7E4C4126
	v_exp_f32_e32 v39, v39                                     // 000000006EA8: 7E4E4127
	v_pk_fma_f32 v[40:41], v[40:41], s[46:47], v[196:197]      // 000000006EAC: D3B04028 1F105D28
	v_pk_fma_f32 v[42:43], v[42:43], s[46:47], v[196:197]      // 000000006EB4: D3B0402A 1F105D2A
	v_exp_f32_e32 v40, v40                                     // 000000006EBC: 7E504128
	v_exp_f32_e32 v41, v41                                     // 000000006EC0: 7E524129
	v_exp_f32_e32 v42, v42                                     // 000000006EC4: 7E54412A
	v_exp_f32_e32 v43, v43                                     // 000000006EC8: 7E56412B
	v_pk_fma_f32 v[44:45], v[44:45], s[46:47], v[196:197]      // 000000006ECC: D3B0402C 1F105D2C
	v_pk_fma_f32 v[46:47], v[46:47], s[46:47], v[196:197]      // 000000006ED4: D3B0402E 1F105D2E
	v_exp_f32_e32 v44, v44                                     // 000000006EDC: 7E58412C
	v_exp_f32_e32 v45, v45                                     // 000000006EE0: 7E5A412D
	v_exp_f32_e32 v46, v46                                     // 000000006EE4: 7E5C412E
	v_exp_f32_e32 v47, v47                                     // 000000006EE8: 7E5E412F
	v_pk_fma_f32 v[48:49], v[48:49], s[46:47], v[196:197]      // 000000006EEC: D3B04030 1F105D30
	v_pk_fma_f32 v[50:51], v[50:51], s[46:47], v[196:197]      // 000000006EF4: D3B04032 1F105D32
	v_exp_f32_e32 v48, v48                                     // 000000006EFC: 7E604130
	v_exp_f32_e32 v49, v49                                     // 000000006F00: 7E624131
	v_exp_f32_e32 v50, v50                                     // 000000006F04: 7E644132
	v_exp_f32_e32 v51, v51                                     // 000000006F08: 7E664133
	v_max_f32_e32 v159, v179, v155                             // 000000006F0C: 173F37B3
	v_mul_f32_e64 v196, -s46, v159                             // 000000006F10: D10500C4 20033E2E
	v_mov_b32_e32 v197, v196                                   // 000000006F18: 7F8A03C4
	v_pk_fma_f32 v[52:53], v[52:53], s[46:47], v[196:197]      // 000000006F1C: D3B04034 1F105D34
	v_pk_fma_f32 v[54:55], v[54:55], s[46:47], v[196:197]      // 000000006F24: D3B04036 1F105D36
	v_exp_f32_e32 v52, v52                                     // 000000006F2C: 7E684134
	v_exp_f32_e32 v53, v53                                     // 000000006F30: 7E6A4135
	v_exp_f32_e32 v54, v54                                     // 000000006F34: 7E6C4136
	v_exp_f32_e32 v55, v55                                     // 000000006F38: 7E6E4137
	v_pk_fma_f32 v[56:57], v[56:57], s[46:47], v[196:197]      // 000000006F3C: D3B04038 1F105D38
	v_pk_fma_f32 v[58:59], v[58:59], s[46:47], v[196:197]      // 000000006F44: D3B0403A 1F105D3A
	v_exp_f32_e32 v56, v56                                     // 000000006F4C: 7E704138
	v_exp_f32_e32 v57, v57                                     // 000000006F50: 7E724139
	v_exp_f32_e32 v58, v58                                     // 000000006F54: 7E74413A
	v_exp_f32_e32 v59, v59                                     // 000000006F58: 7E76413B
	v_pk_fma_f32 v[60:61], v[60:61], s[46:47], v[196:197]      // 000000006F5C: D3B0403C 1F105D3C
	v_pk_fma_f32 v[62:63], v[62:63], s[46:47], v[196:197]      // 000000006F64: D3B0403E 1F105D3E
	v_exp_f32_e32 v60, v60                                     // 000000006F6C: 7E78413C
	v_exp_f32_e32 v61, v61                                     // 000000006F70: 7E7A413D
	v_exp_f32_e32 v62, v62                                     // 000000006F74: 7E7C413E
	v_exp_f32_e32 v63, v63                                     // 000000006F78: 7E7E413F
	v_pk_fma_f32 v[64:65], v[64:65], s[46:47], v[196:197]      // 000000006F7C: D3B04040 1F105D40
	v_pk_fma_f32 v[66:67], v[66:67], s[46:47], v[196:197]      // 000000006F84: D3B04042 1F105D42
	v_exp_f32_e32 v64, v64                                     // 000000006F8C: 7E804140
	v_exp_f32_e32 v65, v65                                     // 000000006F90: 7E824141
	v_exp_f32_e32 v66, v66                                     // 000000006F94: 7E844142
	v_exp_f32_e32 v67, v67                                     // 000000006F98: 7E864143
	v_sub_f32_e32 v160, v152, v156                             // 000000006F9C: 05413998
	v_cmp_eq_u32_e64 s[98:99], v216, v152                      // 000000006FA0: D0CA0062 000331D8
	v_cndmask_b32_e64 v160, v160, 0, s[98:99]                  // 000000006FA8: D10000A0 018901A0
	v_mov_b32_e32 v152, v156                                   // 000000006FB0: 7F30039C
	v_mul_f32_e32 v160, s46, v160                              // 000000006FB4: 0B41402E
	v_exp_f32_e32 v160, v160                                   // 000000006FB8: 7F4041A0
	v_sub_f32_e32 v162, v153, v157                             // 000000006FBC: 05453B99
	v_cmp_eq_u32_e64 s[98:99], v216, v153                      // 000000006FC0: D0CA0062 000333D8
	v_cndmask_b32_e64 v162, v162, 0, s[98:99]                  // 000000006FC8: D10000A2 018901A2
	v_mov_b32_e32 v153, v157                                   // 000000006FD0: 7F32039D
	v_mul_f32_e32 v162, s46, v162                              // 000000006FD4: 0B45442E
	v_exp_f32_e32 v162, v162                                   // 000000006FD8: 7F4441A2
	v_sub_f32_e32 v164, v154, v158                             // 000000006FDC: 05493D9A
	v_cmp_eq_u32_e64 s[98:99], v216, v154                      // 000000006FE0: D0CA0062 000335D8
	v_cndmask_b32_e64 v164, v164, 0, s[98:99]                  // 000000006FE8: D10000A4 018901A4
	v_mov_b32_e32 v154, v158                                   // 000000006FF0: 7F34039E
	v_mul_f32_e32 v164, s46, v164                              // 000000006FF4: 0B49482E
	v_exp_f32_e32 v164, v164                                   // 000000006FF8: 7F4841A4
	v_sub_f32_e32 v166, v155, v159                             // 000000006FFC: 054D3F9B
	v_cmp_eq_u32_e64 s[98:99], v216, v155                      // 000000007000: D0CA0062 000337D8
	v_cndmask_b32_e64 v166, v166, 0, s[98:99]                  // 000000007008: D10000A6 018901A6
	v_mov_b32_e32 v155, v159                                   // 000000007010: 7F36039F
	v_mul_f32_e32 v166, s46, v166                              // 000000007014: 0B4D4C2E
	v_exp_f32_e32 v166, v166                                   // 000000007018: 7F4C41A6
	v_mov_b32_e32 v161, v160                                   // 00000000701C: 7F4203A0
	v_mov_b32_e32 v163, v162                                   // 000000007020: 7F4603A2
	v_mov_b32_e32 v165, v164                                   // 000000007024: 7F4A03A4
	v_mov_b32_e32 v167, v166                                   // 000000007028: 7F4E03A6
	v_mul_f32_e32 v168, v160, v168                             // 00000000702C: 0B5151A0
	v_mov_b32_e32 v169, 0                                      // 000000007030: 7F520280
	v_pk_add_f32 v[168:169], v[4:5], v[168:169]                // 000000007034: D3B240A8 18035104
	v_pk_add_f32 v[168:169], v[6:7], v[168:169]                // 00000000703C: D3B240A8 18035106
	v_pk_add_f32 v[168:169], v[8:9], v[168:169]                // 000000007044: D3B240A8 18035108
	v_pk_add_f32 v[168:169], v[10:11], v[168:169]              // 00000000704C: D3B240A8 1803510A
	v_pk_add_f32 v[168:169], v[12:13], v[168:169]              // 000000007054: D3B240A8 1803510C
	v_pk_add_f32 v[168:169], v[14:15], v[168:169]              // 00000000705C: D3B240A8 1803510E
	v_pk_add_f32 v[168:169], v[16:17], v[168:169]              // 000000007064: D3B240A8 18035110
	v_pk_add_f32 v[168:169], v[18:19], v[168:169]              // 00000000706C: D3B240A8 18035112
	v_add_f32_e32 v168, v169, v168                             // 000000007074: 035151A9
	v_mul_f32_e32 v170, v162, v170                             // 000000007078: 0B5555A2
	v_mov_b32_e32 v171, 0                                      // 00000000707C: 7F560280
	v_pk_add_f32 v[170:171], v[20:21], v[170:171]              // 000000007080: D3B240AA 18035514
	v_pk_add_f32 v[170:171], v[22:23], v[170:171]              // 000000007088: D3B240AA 18035516
	v_pk_add_f32 v[170:171], v[24:25], v[170:171]              // 000000007090: D3B240AA 18035518
	v_pk_add_f32 v[170:171], v[26:27], v[170:171]              // 000000007098: D3B240AA 1803551A
	v_pk_add_f32 v[170:171], v[28:29], v[170:171]              // 0000000070A0: D3B240AA 1803551C
	v_pk_add_f32 v[170:171], v[30:31], v[170:171]              // 0000000070A8: D3B240AA 1803551E
	v_pk_add_f32 v[170:171], v[32:33], v[170:171]              // 0000000070B0: D3B240AA 18035520
	v_pk_add_f32 v[170:171], v[34:35], v[170:171]              // 0000000070B8: D3B240AA 18035522
	v_add_f32_e32 v170, v171, v170                             // 0000000070C0: 035555AB
	v_mul_f32_e32 v172, v164, v172                             // 0000000070C4: 0B5959A4
	v_mov_b32_e32 v173, 0                                      // 0000000070C8: 7F5A0280
	v_pk_add_f32 v[172:173], v[36:37], v[172:173]              // 0000000070CC: D3B240AC 18035924
	v_pk_add_f32 v[172:173], v[38:39], v[172:173]              // 0000000070D4: D3B240AC 18035926
	v_pk_add_f32 v[172:173], v[40:41], v[172:173]              // 0000000070DC: D3B240AC 18035928
	v_pk_add_f32 v[172:173], v[42:43], v[172:173]              // 0000000070E4: D3B240AC 1803592A
	v_pk_add_f32 v[172:173], v[44:45], v[172:173]              // 0000000070EC: D3B240AC 1803592C
	v_pk_add_f32 v[172:173], v[46:47], v[172:173]              // 0000000070F4: D3B240AC 1803592E
	v_pk_add_f32 v[172:173], v[48:49], v[172:173]              // 0000000070FC: D3B240AC 18035930
	v_pk_add_f32 v[172:173], v[50:51], v[172:173]              // 000000007104: D3B240AC 18035932
	v_add_f32_e32 v172, v173, v172                             // 00000000710C: 035959AD
	v_mul_f32_e32 v174, v166, v174                             // 000000007110: 0B5D5DA6
	v_mov_b32_e32 v175, 0                                      // 000000007114: 7F5E0280
	v_pk_add_f32 v[174:175], v[52:53], v[174:175]              // 000000007118: D3B240AE 18035D34
	v_pk_add_f32 v[174:175], v[54:55], v[174:175]              // 000000007120: D3B240AE 18035D36
	v_pk_add_f32 v[174:175], v[56:57], v[174:175]              // 000000007128: D3B240AE 18035D38
	v_pk_add_f32 v[174:175], v[58:59], v[174:175]              // 000000007130: D3B240AE 18035D3A
	v_pk_add_f32 v[174:175], v[60:61], v[174:175]              // 000000007138: D3B240AE 18035D3C
	v_pk_add_f32 v[174:175], v[62:63], v[174:175]              // 000000007140: D3B240AE 18035D3E
	v_pk_add_f32 v[174:175], v[64:65], v[174:175]              // 000000007148: D3B240AE 18035D40
	v_pk_add_f32 v[174:175], v[66:67], v[174:175]              // 000000007150: D3B240AE 18035D42
	v_add_f32_e32 v174, v175, v174                             // 000000007158: 035D5DAF
	v_mul_f32_dpp v4, v142, v4 row_newbcast:0 row_mask:0xf bank_mask:0xf// 00000000715C: 0A0808FA FF01508E
	v_mul_f32_dpp v5, v142, v5 row_newbcast:1 row_mask:0xf bank_mask:0xf// 000000007164: 0A0A0AFA FF01518E
	v_mul_f32_dpp v6, v142, v6 row_newbcast:2 row_mask:0xf bank_mask:0xf// 00000000716C: 0A0C0CFA FF01528E
	v_mul_f32_dpp v7, v142, v7 row_newbcast:3 row_mask:0xf bank_mask:0xf// 000000007174: 0A0E0EFA FF01538E
	v_mul_f32_dpp v8, v142, v8 row_newbcast:4 row_mask:0xf bank_mask:0xf// 00000000717C: 0A1010FA FF01548E
	v_mul_f32_dpp v9, v142, v9 row_newbcast:5 row_mask:0xf bank_mask:0xf// 000000007184: 0A1212FA FF01558E
	v_mul_f32_dpp v10, v142, v10 row_newbcast:6 row_mask:0xf bank_mask:0xf// 00000000718C: 0A1414FA FF01568E
	v_mul_f32_dpp v11, v142, v11 row_newbcast:7 row_mask:0xf bank_mask:0xf// 000000007194: 0A1616FA FF01578E
	v_mul_f32_dpp v12, v142, v12 row_newbcast:8 row_mask:0xf bank_mask:0xf// 00000000719C: 0A1818FA FF01588E
	v_mul_f32_dpp v13, v142, v13 row_newbcast:9 row_mask:0xf bank_mask:0xf// 0000000071A4: 0A1A1AFA FF01598E
	v_mul_f32_dpp v14, v142, v14 row_newbcast:10 row_mask:0xf bank_mask:0xf// 0000000071AC: 0A1C1CFA FF015A8E
	v_mul_f32_dpp v15, v142, v15 row_newbcast:11 row_mask:0xf bank_mask:0xf// 0000000071B4: 0A1E1EFA FF015B8E
	v_mul_f32_dpp v16, v142, v16 row_newbcast:12 row_mask:0xf bank_mask:0xf// 0000000071BC: 0A2020FA FF015C8E
	v_mul_f32_dpp v17, v142, v17 row_newbcast:13 row_mask:0xf bank_mask:0xf// 0000000071C4: 0A2222FA FF015D8E
	v_mul_f32_dpp v18, v142, v18 row_newbcast:14 row_mask:0xf bank_mask:0xf// 0000000071CC: 0A2424FA FF015E8E
	v_mul_f32_dpp v19, v142, v19 row_newbcast:15 row_mask:0xf bank_mask:0xf// 0000000071D4: 0A2626FA FF015F8E
	v_mul_f32_dpp v20, v142, v20 row_newbcast:0 row_mask:0xf bank_mask:0xf// 0000000071DC: 0A2828FA FF01508E
	v_mul_f32_dpp v21, v142, v21 row_newbcast:1 row_mask:0xf bank_mask:0xf// 0000000071E4: 0A2A2AFA FF01518E
	v_mul_f32_dpp v22, v142, v22 row_newbcast:2 row_mask:0xf bank_mask:0xf// 0000000071EC: 0A2C2CFA FF01528E
	v_mul_f32_dpp v23, v142, v23 row_newbcast:3 row_mask:0xf bank_mask:0xf// 0000000071F4: 0A2E2EFA FF01538E
	v_mul_f32_dpp v24, v142, v24 row_newbcast:4 row_mask:0xf bank_mask:0xf// 0000000071FC: 0A3030FA FF01548E
	v_mul_f32_dpp v25, v142, v25 row_newbcast:5 row_mask:0xf bank_mask:0xf// 000000007204: 0A3232FA FF01558E
	v_mul_f32_dpp v26, v142, v26 row_newbcast:6 row_mask:0xf bank_mask:0xf// 00000000720C: 0A3434FA FF01568E
	v_mul_f32_dpp v27, v142, v27 row_newbcast:7 row_mask:0xf bank_mask:0xf// 000000007214: 0A3636FA FF01578E
	v_mul_f32_dpp v28, v142, v28 row_newbcast:8 row_mask:0xf bank_mask:0xf// 00000000721C: 0A3838FA FF01588E
	v_mul_f32_dpp v29, v142, v29 row_newbcast:9 row_mask:0xf bank_mask:0xf// 000000007224: 0A3A3AFA FF01598E
	v_mul_f32_dpp v30, v142, v30 row_newbcast:10 row_mask:0xf bank_mask:0xf// 00000000722C: 0A3C3CFA FF015A8E
	v_mul_f32_dpp v31, v142, v31 row_newbcast:11 row_mask:0xf bank_mask:0xf// 000000007234: 0A3E3EFA FF015B8E
	v_mul_f32_dpp v32, v142, v32 row_newbcast:12 row_mask:0xf bank_mask:0xf// 00000000723C: 0A4040FA FF015C8E
	v_mul_f32_dpp v33, v142, v33 row_newbcast:13 row_mask:0xf bank_mask:0xf// 000000007244: 0A4242FA FF015D8E
	v_mul_f32_dpp v34, v142, v34 row_newbcast:14 row_mask:0xf bank_mask:0xf// 00000000724C: 0A4444FA FF015E8E
	v_mul_f32_dpp v35, v142, v35 row_newbcast:15 row_mask:0xf bank_mask:0xf// 000000007254: 0A4646FA FF015F8E
	v_mul_f32_dpp v36, v142, v36 row_newbcast:0 row_mask:0xf bank_mask:0xf// 00000000725C: 0A4848FA FF01508E
	v_mul_f32_dpp v37, v142, v37 row_newbcast:1 row_mask:0xf bank_mask:0xf// 000000007264: 0A4A4AFA FF01518E
	v_mul_f32_dpp v38, v142, v38 row_newbcast:2 row_mask:0xf bank_mask:0xf// 00000000726C: 0A4C4CFA FF01528E
	v_mul_f32_dpp v39, v142, v39 row_newbcast:3 row_mask:0xf bank_mask:0xf// 000000007274: 0A4E4EFA FF01538E
	v_mul_f32_dpp v40, v142, v40 row_newbcast:4 row_mask:0xf bank_mask:0xf// 00000000727C: 0A5050FA FF01548E
	v_mul_f32_dpp v41, v142, v41 row_newbcast:5 row_mask:0xf bank_mask:0xf// 000000007284: 0A5252FA FF01558E
	v_mul_f32_dpp v42, v142, v42 row_newbcast:6 row_mask:0xf bank_mask:0xf// 00000000728C: 0A5454FA FF01568E
	v_mul_f32_dpp v43, v142, v43 row_newbcast:7 row_mask:0xf bank_mask:0xf// 000000007294: 0A5656FA FF01578E
	v_mul_f32_dpp v44, v142, v44 row_newbcast:8 row_mask:0xf bank_mask:0xf// 00000000729C: 0A5858FA FF01588E
	v_mul_f32_dpp v45, v142, v45 row_newbcast:9 row_mask:0xf bank_mask:0xf// 0000000072A4: 0A5A5AFA FF01598E
	v_mul_f32_dpp v46, v142, v46 row_newbcast:10 row_mask:0xf bank_mask:0xf// 0000000072AC: 0A5C5CFA FF015A8E
	v_mul_f32_dpp v47, v142, v47 row_newbcast:11 row_mask:0xf bank_mask:0xf// 0000000072B4: 0A5E5EFA FF015B8E
	v_mul_f32_dpp v48, v142, v48 row_newbcast:12 row_mask:0xf bank_mask:0xf// 0000000072BC: 0A6060FA FF015C8E
	v_mul_f32_dpp v49, v142, v49 row_newbcast:13 row_mask:0xf bank_mask:0xf// 0000000072C4: 0A6262FA FF015D8E
	v_mul_f32_dpp v50, v142, v50 row_newbcast:14 row_mask:0xf bank_mask:0xf// 0000000072CC: 0A6464FA FF015E8E
	v_mul_f32_dpp v51, v142, v51 row_newbcast:15 row_mask:0xf bank_mask:0xf// 0000000072D4: 0A6666FA FF015F8E
	v_mul_f32_dpp v52, v142, v52 row_newbcast:0 row_mask:0xf bank_mask:0xf// 0000000072DC: 0A6868FA FF01508E
	v_mul_f32_dpp v53, v142, v53 row_newbcast:1 row_mask:0xf bank_mask:0xf// 0000000072E4: 0A6A6AFA FF01518E
	v_mul_f32_dpp v54, v142, v54 row_newbcast:2 row_mask:0xf bank_mask:0xf// 0000000072EC: 0A6C6CFA FF01528E
	v_mul_f32_dpp v55, v142, v55 row_newbcast:3 row_mask:0xf bank_mask:0xf// 0000000072F4: 0A6E6EFA FF01538E
	v_mul_f32_dpp v56, v142, v56 row_newbcast:4 row_mask:0xf bank_mask:0xf// 0000000072FC: 0A7070FA FF01548E
	v_mul_f32_dpp v57, v142, v57 row_newbcast:5 row_mask:0xf bank_mask:0xf// 000000007304: 0A7272FA FF01558E
	v_mul_f32_dpp v58, v142, v58 row_newbcast:6 row_mask:0xf bank_mask:0xf// 00000000730C: 0A7474FA FF01568E
	v_mul_f32_dpp v59, v142, v59 row_newbcast:7 row_mask:0xf bank_mask:0xf// 000000007314: 0A7676FA FF01578E
	v_mul_f32_dpp v60, v142, v60 row_newbcast:8 row_mask:0xf bank_mask:0xf// 00000000731C: 0A7878FA FF01588E
	v_mul_f32_dpp v61, v142, v61 row_newbcast:9 row_mask:0xf bank_mask:0xf// 000000007324: 0A7A7AFA FF01598E
	v_mul_f32_dpp v62, v142, v62 row_newbcast:10 row_mask:0xf bank_mask:0xf// 00000000732C: 0A7C7CFA FF015A8E
	v_mul_f32_dpp v63, v142, v63 row_newbcast:11 row_mask:0xf bank_mask:0xf// 000000007334: 0A7E7EFA FF015B8E
	v_mul_f32_dpp v64, v142, v64 row_newbcast:12 row_mask:0xf bank_mask:0xf// 00000000733C: 0A8080FA FF015C8E
	v_mul_f32_dpp v65, v142, v65 row_newbcast:13 row_mask:0xf bank_mask:0xf// 000000007344: 0A8282FA FF015D8E
	v_mul_f32_dpp v66, v142, v66 row_newbcast:14 row_mask:0xf bank_mask:0xf// 00000000734C: 0A8484FA FF015E8E
	v_mul_f32_dpp v67, v142, v67 row_newbcast:15 row_mask:0xf bank_mask:0xf// 000000007354: 0A8686FA FF015F8E
	buffer_load_dword v141, v231, s[20:23], 0 offen            // 00000000735C: E0501000 80058DE7
	s_waitcnt lgkmcnt(0)                                       // 000000007364: BF8CC07F
	s_barrier                                                  // 000000007368: BF8A0000
	buffer_load_dword v143, v232, s[24:27], 0 offen            // 00000000736C: E0501000 80068FE8
	s_waitcnt lgkmcnt(0)                                       // 000000007374: BF8CC07F
	v_sub_f32_e32 v176, v176, v152                             // 000000007378: 056131B0
	v_sub_f32_e32 v177, v177, v153                             // 00000000737C: 056333B1
	v_sub_f32_e32 v178, v178, v154                             // 000000007380: 056535B2
	v_sub_f32_e32 v179, v179, v155                             // 000000007384: 056737B3
	v_mul_f32_e32 v176, s46, v176                              // 000000007388: 0B61602E
	v_mul_f32_e32 v177, s46, v177                              // 00000000738C: 0B63622E
	v_mul_f32_e32 v178, s46, v178                              // 000000007390: 0B65642E
	v_mul_f32_e32 v179, s46, v179                              // 000000007394: 0B67662E
	v_exp_f32_e32 v176, v176                                   // 000000007398: 7F6041B0
	v_exp_f32_e32 v177, v177                                   // 00000000739C: 7F6241B1
	v_exp_f32_e32 v178, v178                                   // 0000000073A0: 7F6441B2
	v_exp_f32_e32 v179, v179                                   // 0000000073A4: 7F6641B3
	v_mul_f32_e32 v176, v142, v176                             // 0000000073A8: 0B61618E
	v_mul_f32_e32 v177, v142, v177                             // 0000000073AC: 0B63638E
	v_mul_f32_e32 v178, v142, v178                             // 0000000073B0: 0B65658E
	v_mul_f32_e32 v179, v142, v179                             // 0000000073B4: 0B67678E
	v_add_f32_e32 v176, 0x3089705f, v176                       // 0000000073B8: 036160FF 3089705F
	v_add_f32_e32 v177, 0x3089705f, v177                       // 0000000073C0: 036362FF 3089705F
	v_add_f32_e32 v178, 0x3089705f, v178                       // 0000000073C8: 036564FF 3089705F
	v_add_f32_e32 v179, 0x3089705f, v179                       // 0000000073D0: 036766FF 3089705F
	v_rcp_f32_e32 v176, v176                                   // 0000000073D8: 7F6045B0
	v_rcp_f32_e32 v177, v177                                   // 0000000073DC: 7F6245B1
	v_rcp_f32_e32 v178, v178                                   // 0000000073E0: 7F6445B2
	v_rcp_f32_e32 v179, v179                                   // 0000000073E4: 7F6645B3
	v_mul_f32_e32 v176, 0x43700000, v176                       // 0000000073E8: 0B6160FF 43700000
	v_mul_f32_e32 v177, 0x43700000, v177                       // 0000000073F0: 0B6362FF 43700000
	v_mul_f32_e32 v178, 0x43700000, v178                       // 0000000073F8: 0B6564FF 43700000
	v_mul_f32_e32 v179, 0x43700000, v179                       // 000000007400: 0B6766FF 43700000
	v_mul_f32_e32 v4, v176, v4                                 // 000000007408: 0A0809B0
	v_mul_f32_e32 v5, v176, v5                                 // 00000000740C: 0A0A0BB0
	v_mul_f32_e32 v6, v176, v6                                 // 000000007410: 0A0C0DB0
	v_mul_f32_e32 v7, v176, v7                                 // 000000007414: 0A0E0FB0
	v_mul_f32_e32 v8, v176, v8                                 // 000000007418: 0A1011B0
	v_mul_f32_e32 v9, v176, v9                                 // 00000000741C: 0A1213B0
	v_mul_f32_e32 v10, v176, v10                               // 000000007420: 0A1415B0
	v_mul_f32_e32 v11, v176, v11                               // 000000007424: 0A1617B0
	v_mul_f32_e32 v12, v176, v12                               // 000000007428: 0A1819B0
	v_mul_f32_e32 v13, v176, v13                               // 00000000742C: 0A1A1BB0
	v_mul_f32_e32 v14, v176, v14                               // 000000007430: 0A1C1DB0
	v_mul_f32_e32 v15, v176, v15                               // 000000007434: 0A1E1FB0
	v_mul_f32_e32 v16, v176, v16                               // 000000007438: 0A2021B0
	v_mul_f32_e32 v17, v176, v17                               // 00000000743C: 0A2223B0
	v_mul_f32_e32 v18, v176, v18                               // 000000007440: 0A2425B0
	v_mul_f32_e32 v19, v176, v19                               // 000000007444: 0A2627B0
	v_mul_f32_e32 v20, v177, v20                               // 000000007448: 0A2829B1
	v_mul_f32_e32 v21, v177, v21                               // 00000000744C: 0A2A2BB1
	v_mul_f32_e32 v22, v177, v22                               // 000000007450: 0A2C2DB1
	v_mul_f32_e32 v23, v177, v23                               // 000000007454: 0A2E2FB1
	v_mul_f32_e32 v24, v177, v24                               // 000000007458: 0A3031B1
	v_mul_f32_e32 v25, v177, v25                               // 00000000745C: 0A3233B1
	v_mul_f32_e32 v26, v177, v26                               // 000000007460: 0A3435B1
	v_mul_f32_e32 v27, v177, v27                               // 000000007464: 0A3637B1
	v_mul_f32_e32 v28, v177, v28                               // 000000007468: 0A3839B1
	v_mul_f32_e32 v29, v177, v29                               // 00000000746C: 0A3A3BB1
	v_mul_f32_e32 v30, v177, v30                               // 000000007470: 0A3C3DB1
	v_mul_f32_e32 v31, v177, v31                               // 000000007474: 0A3E3FB1
	v_mul_f32_e32 v32, v177, v32                               // 000000007478: 0A4041B1
	v_mul_f32_e32 v33, v177, v33                               // 00000000747C: 0A4243B1
	v_mul_f32_e32 v34, v177, v34                               // 000000007480: 0A4445B1
	v_mul_f32_e32 v35, v177, v35                               // 000000007484: 0A4647B1
	v_mul_f32_e32 v36, v178, v36                               // 000000007488: 0A4849B2
	v_mul_f32_e32 v37, v178, v37                               // 00000000748C: 0A4A4BB2
	v_mul_f32_e32 v38, v178, v38                               // 000000007490: 0A4C4DB2
	v_mul_f32_e32 v39, v178, v39                               // 000000007494: 0A4E4FB2
	v_mul_f32_e32 v40, v178, v40                               // 000000007498: 0A5051B2
	v_mul_f32_e32 v41, v178, v41                               // 00000000749C: 0A5253B2
	v_mul_f32_e32 v42, v178, v42                               // 0000000074A0: 0A5455B2
	v_mul_f32_e32 v43, v178, v43                               // 0000000074A4: 0A5657B2
	v_mul_f32_e32 v44, v178, v44                               // 0000000074A8: 0A5859B2
	v_mul_f32_e32 v45, v178, v45                               // 0000000074AC: 0A5A5BB2
	v_mul_f32_e32 v46, v178, v46                               // 0000000074B0: 0A5C5DB2
	v_mul_f32_e32 v47, v178, v47                               // 0000000074B4: 0A5E5FB2
	v_mul_f32_e32 v48, v178, v48                               // 0000000074B8: 0A6061B2
	v_mul_f32_e32 v49, v178, v49                               // 0000000074BC: 0A6263B2
	v_mul_f32_e32 v50, v178, v50                               // 0000000074C0: 0A6465B2
	v_mul_f32_e32 v51, v178, v51                               // 0000000074C4: 0A6667B2
	v_mul_f32_e32 v52, v179, v52                               // 0000000074C8: 0A6869B3
	v_mul_f32_e32 v53, v179, v53                               // 0000000074CC: 0A6A6BB3
	v_mul_f32_e32 v54, v179, v54                               // 0000000074D0: 0A6C6DB3
	v_mul_f32_e32 v55, v179, v55                               // 0000000074D4: 0A6E6FB3
	v_mul_f32_e32 v56, v179, v56                               // 0000000074D8: 0A7071B3
	v_mul_f32_e32 v57, v179, v57                               // 0000000074DC: 0A7273B3
	v_mul_f32_e32 v58, v179, v58                               // 0000000074E0: 0A7475B3
	v_mul_f32_e32 v59, v179, v59                               // 0000000074E4: 0A7677B3
	v_mul_f32_e32 v60, v179, v60                               // 0000000074E8: 0A7879B3
	v_mul_f32_e32 v61, v179, v61                               // 0000000074EC: 0A7A7BB3
	v_mul_f32_e32 v62, v179, v62                               // 0000000074F0: 0A7C7DB3
	v_mul_f32_e32 v63, v179, v63                               // 0000000074F4: 0A7E7FB3
	v_mul_f32_e32 v64, v179, v64                               // 0000000074F8: 0A8081B3
	v_mul_f32_e32 v65, v179, v65                               // 0000000074FC: 0A8283B3
	v_mul_f32_e32 v66, v179, v66                               // 000000007500: 0A8485B3
	v_mul_f32_e32 v67, v179, v67                               // 000000007504: 0A8687B3
	v_cvt_pk_fp8_f32 v4, v4, v5                                // 000000007508: D2A20004 00020B04
	v_cvt_pk_fp8_f32 v4, v6, v7 op_sel:[0,0,1]                 // 000000007510: D2A24004 00020F06
	v_cvt_pk_fp8_f32 v5, v8, v9                                // 000000007518: D2A20005 00021308
	v_cvt_pk_fp8_f32 v5, v10, v11 op_sel:[0,0,1]               // 000000007520: D2A24005 0002170A
	v_cvt_pk_fp8_f32 v6, v12, v13                              // 000000007528: D2A20006 00021B0C
	v_cvt_pk_fp8_f32 v6, v14, v15 op_sel:[0,0,1]               // 000000007530: D2A24006 00021F0E
	v_cvt_pk_fp8_f32 v7, v16, v17                              // 000000007538: D2A20007 00022310
	v_cvt_pk_fp8_f32 v7, v18, v19 op_sel:[0,0,1]               // 000000007540: D2A24007 00022712
	v_cvt_pk_fp8_f32 v8, v20, v21                              // 000000007548: D2A20008 00022B14
	v_cvt_pk_fp8_f32 v8, v22, v23 op_sel:[0,0,1]               // 000000007550: D2A24008 00022F16
	v_cvt_pk_fp8_f32 v9, v24, v25                              // 000000007558: D2A20009 00023318
	v_cvt_pk_fp8_f32 v9, v26, v27 op_sel:[0,0,1]               // 000000007560: D2A24009 0002371A
	v_cvt_pk_fp8_f32 v10, v28, v29                             // 000000007568: D2A2000A 00023B1C
	v_cvt_pk_fp8_f32 v10, v30, v31 op_sel:[0,0,1]              // 000000007570: D2A2400A 00023F1E
	v_cvt_pk_fp8_f32 v11, v32, v33                             // 000000007578: D2A2000B 00024320
	v_cvt_pk_fp8_f32 v11, v34, v35 op_sel:[0,0,1]              // 000000007580: D2A2400B 00024722
	v_cvt_pk_fp8_f32 v12, v36, v37                             // 000000007588: D2A2000C 00024B24
	v_cvt_pk_fp8_f32 v12, v38, v39 op_sel:[0,0,1]              // 000000007590: D2A2400C 00024F26
	v_cvt_pk_fp8_f32 v13, v40, v41                             // 000000007598: D2A2000D 00025328
	v_cvt_pk_fp8_f32 v13, v42, v43 op_sel:[0,0,1]              // 0000000075A0: D2A2400D 0002572A
	v_cvt_pk_fp8_f32 v14, v44, v45                             // 0000000075A8: D2A2000E 00025B2C
	v_cvt_pk_fp8_f32 v14, v46, v47 op_sel:[0,0,1]              // 0000000075B0: D2A2400E 00025F2E
	v_cvt_pk_fp8_f32 v15, v48, v49                             // 0000000075B8: D2A2000F 00026330
	v_cvt_pk_fp8_f32 v15, v50, v51 op_sel:[0,0,1]              // 0000000075C0: D2A2400F 00026732
	v_cvt_pk_fp8_f32 v16, v52, v53                             // 0000000075C8: D2A20010 00026B34
	v_cvt_pk_fp8_f32 v16, v54, v55 op_sel:[0,0,1]              // 0000000075D0: D2A24010 00026F36
	v_cvt_pk_fp8_f32 v17, v56, v57                             // 0000000075D8: D2A20011 00027338
	v_cvt_pk_fp8_f32 v17, v58, v59 op_sel:[0,0,1]              // 0000000075E0: D2A24011 0002773A
	v_cvt_pk_fp8_f32 v18, v60, v61                             // 0000000075E8: D2A20012 00027B3C
	v_cvt_pk_fp8_f32 v18, v62, v63 op_sel:[0,0,1]              // 0000000075F0: D2A24012 00027F3E
	v_cvt_pk_fp8_f32 v19, v64, v65                             // 0000000075F8: D2A20013 00028340
	v_cvt_pk_fp8_f32 v19, v66, v67 op_sel:[0,0,1]              // 000000007600: D2A24013 00028742
	ds_write_b32 v249, v4 offset:8192                          // 000000007608: D81A2000 000004F9
	ds_write_b32 v249, v5 offset:9216                          // 000000007610: D81A2400 000005F9
	ds_write_b32 v249, v6 offset:10240                         // 000000007618: D81A2800 000006F9
	ds_write_b32 v249, v7 offset:11264                         // 000000007620: D81A2C00 000007F9
	ds_write_b32 v249, v8 offset:12288                         // 000000007628: D81A3000 000008F9
	ds_write_b32 v249, v9 offset:13312                         // 000000007630: D81A3400 000009F9
	ds_write_b32 v249, v10 offset:14336                        // 000000007638: D81A3800 00000AF9
	ds_write_b32 v249, v11 offset:15360                        // 000000007640: D81A3C00 00000BF9
	ds_write_b32 v249, v12 offset:16384                        // 000000007648: D81A4000 00000CF9
	ds_write_b32 v249, v13 offset:17408                        // 000000007650: D81A4400 00000DF9
	ds_write_b32 v249, v14 offset:18432                        // 000000007658: D81A4800 00000EF9
	ds_write_b32 v249, v15 offset:19456                        // 000000007660: D81A4C00 00000FF9
	ds_write_b32 v249, v16 offset:20480                        // 000000007668: D81A5000 000010F9
	ds_write_b32 v249, v17 offset:21504                        // 000000007670: D81A5400 000011F9
	ds_write_b32 v249, v18 offset:22528                        // 000000007678: D81A5800 000012F9
	ds_write_b32 v249, v19 offset:23552                        // 000000007680: D81A5C00 000013F9
	v_rcp_f32_e32 v144, v176                                   // 000000007688: 7F2045B0
	v_rcp_f32_e32 v146, v177                                   // 00000000768C: 7F2445B1
	v_rcp_f32_e32 v148, v178                                   // 000000007690: 7F2845B2
	v_rcp_f32_e32 v150, v179                                   // 000000007694: 7F2C45B3
	v_mov_b32_e32 v145, v144                                   // 000000007698: 7F220390
	v_mov_b32_e32 v147, v146                                   // 00000000769C: 7F260392
	v_mov_b32_e32 v149, v148                                   // 0000000076A0: 7F2A0394
	v_mov_b32_e32 v151, v150                                   // 0000000076A4: 7F2E0396
	v_pk_add_f32 v[100:101], v[100:101], v[68:69]              // 0000000076A8: D3B24064 18028964
	v_pk_add_f32 v[102:103], v[102:103], v[70:71]              // 0000000076B0: D3B24066 18028D66
	v_pk_add_f32 v[104:105], v[104:105], v[72:73]              // 0000000076B8: D3B24068 18029168
	v_pk_add_f32 v[106:107], v[106:107], v[74:75]              // 0000000076C0: D3B2406A 1802956A
	v_pk_add_f32 v[108:109], v[108:109], v[76:77]              // 0000000076C8: D3B2406C 1802996C
	v_pk_add_f32 v[110:111], v[110:111], v[78:79]              // 0000000076D0: D3B2406E 18029D6E
	v_pk_add_f32 v[112:113], v[112:113], v[80:81]              // 0000000076D8: D3B24070 1802A170
	v_pk_add_f32 v[114:115], v[114:115], v[82:83]              // 0000000076E0: D3B24072 1802A572
	v_pk_add_f32 v[116:117], v[116:117], v[84:85]              // 0000000076E8: D3B24074 1802A974
	v_pk_add_f32 v[118:119], v[118:119], v[86:87]              // 0000000076F0: D3B24076 1802AD76
	v_pk_add_f32 v[120:121], v[120:121], v[88:89]              // 0000000076F8: D3B24078 1802B178
	v_pk_add_f32 v[122:123], v[122:123], v[90:91]              // 000000007700: D3B2407A 1802B57A
	v_pk_add_f32 v[124:125], v[124:125], v[92:93]              // 000000007708: D3B2407C 1802B97C
	v_pk_add_f32 v[126:127], v[126:127], v[94:95]              // 000000007710: D3B2407E 1802BD7E
	v_pk_add_f32 v[128:129], v[128:129], v[96:97]              // 000000007718: D3B24080 1802C180
	v_pk_add_f32 v[130:131], v[130:131], v[98:99]              // 000000007720: D3B24082 1802C582
	s_waitcnt lgkmcnt(0)                                       // 000000007728: BF8CC07F
	s_barrier                                                  // 00000000772C: BF8A0000
	ds_read_b128 v[4:7], v250 offset:8192                      // 000000007730: D9FE2000 040000FA
	ds_read_b128 v[8:11], v250 offset:9216                     // 000000007738: D9FE2400 080000FA
	ds_read_b128 v[12:15], v250 offset:10240                   // 000000007740: D9FE2800 0C0000FA
	ds_read_b128 v[16:19], v250 offset:11264                   // 000000007748: D9FE2C00 100000FA
	ds_read_b128 v[20:23], v250 offset:12288                   // 000000007750: D9FE3000 140000FA
	ds_read_b128 v[24:27], v250 offset:13312                   // 000000007758: D9FE3400 180000FA
	ds_read_b128 v[28:31], v250 offset:14336                   // 000000007760: D9FE3800 1C0000FA
	ds_read_b128 v[32:35], v250 offset:15360                   // 000000007768: D9FE3C00 200000FA
	ds_read_b128 v[36:39], v250 offset:16384                   // 000000007770: D9FE4000 240000FA
	ds_read_b128 v[40:43], v250 offset:17408                   // 000000007778: D9FE4400 280000FA
	ds_read_b128 v[44:47], v250 offset:18432                   // 000000007780: D9FE4800 2C0000FA
	ds_read_b128 v[48:51], v250 offset:19456                   // 000000007788: D9FE4C00 300000FA
	ds_read_b128 v[52:55], v250 offset:20480                   // 000000007790: D9FE5000 340000FA
	ds_read_b128 v[56:59], v250 offset:21504                   // 000000007798: D9FE5400 380000FA
	ds_read_b128 v[60:63], v250 offset:22528                   // 0000000077A0: D9FE5800 3C0000FA
	ds_read_b128 v[64:67], v250 offset:23552                   // 0000000077A8: D9FE5C00 400000FA
	s_waitcnt vmcnt(10)                                        // 0000000077B0: BF8C0F7A
	s_waitcnt vmcnt(63) expcnt(7) lgkmcnt(15)                  // 0000000077B4: BF8CCF7F
	v_mfma_f32_16x16x32_fp8_fp8 v[68:71], a[96:97], v[4:5], 0  // 0000000077B8: D3F30044 0A020960
	v_mfma_f32_16x16x32_fp8_fp8 v[72:75], a[112:113], v[4:5], 0// 0000000077C0: D3F30048 0A020970
	v_mfma_f32_16x16x32_fp8_fp8 v[68:71], a[98:99], v[6:7], v[68:71]// 0000000077C8: D3F30044 0D120D62
	buffer_load_dwordx4 a[128:131], v227, s[16:19], 0 offen    // 0000000077D0: E05C1000 808480E3
	v_mfma_f32_16x16x32_fp8_fp8 v[72:75], a[114:115], v[6:7], v[72:75]// 0000000077D8: D3F30048 0D220D72
	s_waitcnt lgkmcnt(14)                                      // 0000000077E0: BF8CCE7F
	v_mfma_f32_16x16x32_fp8_fp8 v[68:71], a[100:101], v[8:9], v[68:71]// 0000000077E4: D3F30044 0D121164
	v_mfma_f32_16x16x32_fp8_fp8 v[72:75], a[116:117], v[8:9], v[72:75]// 0000000077EC: D3F30048 0D221174
	v_mfma_f32_16x16x32_fp8_fp8 v[68:71], a[102:103], v[10:11], v[68:71]// 0000000077F4: D3F30044 0D121566
	buffer_load_dwordx4 a[132:135], v228, s[16:19], 0 offen    // 0000000077FC: E05C1000 808484E4
	v_mfma_f32_16x16x32_fp8_fp8 v[72:75], a[118:119], v[10:11], v[72:75]// 000000007804: D3F30048 0D221576
	s_waitcnt lgkmcnt(13)                                      // 00000000780C: BF8CCD7F
	v_mfma_f32_16x16x32_fp8_fp8 v[68:71], a[104:105], v[12:13], v[68:71]// 000000007810: D3F30044 0D121968
	v_mfma_f32_16x16x32_fp8_fp8 v[72:75], a[120:121], v[12:13], v[72:75]// 000000007818: D3F30048 0D221978
	v_mfma_f32_16x16x32_fp8_fp8 v[68:71], a[106:107], v[14:15], v[68:71]// 000000007820: D3F30044 0D121D6A
	buffer_load_dwordx4 a[136:139], v229, s[16:19], 0 offen    // 000000007828: E05C1000 808488E5
	v_mfma_f32_16x16x32_fp8_fp8 v[72:75], a[122:123], v[14:15], v[72:75]// 000000007830: D3F30048 0D221D7A
	s_waitcnt lgkmcnt(12)                                      // 000000007838: BF8CCC7F
	v_mfma_f32_16x16x32_fp8_fp8 v[68:71], a[108:109], v[16:17], v[68:71]// 00000000783C: D3F30044 0D12216C
	v_mfma_f32_16x16x32_fp8_fp8 v[72:75], a[124:125], v[16:17], v[72:75]// 000000007844: D3F30048 0D22217C
	v_mfma_f32_16x16x32_fp8_fp8 v[68:71], a[110:111], v[18:19], v[68:71]// 00000000784C: D3F30044 0D12256E
	buffer_load_dwordx4 a[140:143], v230, s[16:19], 0 offen    // 000000007854: E05C1000 80848CE6
	v_mfma_f32_16x16x32_fp8_fp8 v[72:75], a[126:127], v[18:19], v[72:75]// 00000000785C: D3F30048 0D22257E
	s_waitcnt lgkmcnt(11)                                      // 000000007864: BF8CCB7F
	v_mfma_f32_16x16x32_fp8_fp8 v[76:79], a[96:97], v[20:21], 0// 000000007868: D3F3004C 0A022960
	v_mfma_f32_16x16x32_fp8_fp8 v[80:83], a[112:113], v[20:21], 0// 000000007870: D3F30050 0A022970
	v_mfma_f32_16x16x32_fp8_fp8 v[76:79], a[98:99], v[22:23], v[76:79]// 000000007878: D3F3004C 0D322D62
	buffer_load_dwordx4 a[144:147], v227, s[16:19], 0 offen offset:1024// 000000007880: E05C1400 808490E3
	v_mfma_f32_16x16x32_fp8_fp8 v[80:83], a[114:115], v[22:23], v[80:83]// 000000007888: D3F30050 0D422D72
	s_waitcnt lgkmcnt(10)                                      // 000000007890: BF8CCA7F
	v_mfma_f32_16x16x32_fp8_fp8 v[76:79], a[100:101], v[24:25], v[76:79]// 000000007894: D3F3004C 0D323164
	v_mfma_f32_16x16x32_fp8_fp8 v[80:83], a[116:117], v[24:25], v[80:83]// 00000000789C: D3F30050 0D423174
	v_mfma_f32_16x16x32_fp8_fp8 v[76:79], a[102:103], v[26:27], v[76:79]// 0000000078A4: D3F3004C 0D323566
	buffer_load_dwordx4 a[148:151], v228, s[16:19], 0 offen offset:1024// 0000000078AC: E05C1400 808494E4
	v_mfma_f32_16x16x32_fp8_fp8 v[80:83], a[118:119], v[26:27], v[80:83]// 0000000078B4: D3F30050 0D423576
	s_waitcnt lgkmcnt(9)                                       // 0000000078BC: BF8CC97F
	v_mfma_f32_16x16x32_fp8_fp8 v[76:79], a[104:105], v[28:29], v[76:79]// 0000000078C0: D3F3004C 0D323968
	v_mfma_f32_16x16x32_fp8_fp8 v[80:83], a[120:121], v[28:29], v[80:83]// 0000000078C8: D3F30050 0D423978
	v_mfma_f32_16x16x32_fp8_fp8 v[76:79], a[106:107], v[30:31], v[76:79]// 0000000078D0: D3F3004C 0D323D6A
	buffer_load_dwordx4 a[152:155], v229, s[16:19], 0 offen offset:1024// 0000000078D8: E05C1400 808498E5
	v_mfma_f32_16x16x32_fp8_fp8 v[80:83], a[122:123], v[30:31], v[80:83]// 0000000078E0: D3F30050 0D423D7A
	s_waitcnt lgkmcnt(8)                                       // 0000000078E8: BF8CC87F
	v_mfma_f32_16x16x32_fp8_fp8 v[76:79], a[108:109], v[32:33], v[76:79]// 0000000078EC: D3F3004C 0D32416C
	v_mfma_f32_16x16x32_fp8_fp8 v[80:83], a[124:125], v[32:33], v[80:83]// 0000000078F4: D3F30050 0D42417C
	v_mfma_f32_16x16x32_fp8_fp8 v[76:79], a[110:111], v[34:35], v[76:79]// 0000000078FC: D3F3004C 0D32456E
	buffer_load_dwordx4 a[156:159], v230, s[16:19], 0 offen offset:1024// 000000007904: E05C1400 80849CE6
	v_mfma_f32_16x16x32_fp8_fp8 v[80:83], a[126:127], v[34:35], v[80:83]// 00000000790C: D3F30050 0D42457E
	s_waitcnt lgkmcnt(7)                                       // 000000007914: BF8CC77F
	v_mfma_f32_16x16x32_fp8_fp8 v[84:87], a[96:97], v[36:37], 0// 000000007918: D3F30054 0A024960
	v_mfma_f32_16x16x32_fp8_fp8 v[88:91], a[112:113], v[36:37], 0// 000000007920: D3F30058 0A024970
	v_mfma_f32_16x16x32_fp8_fp8 v[84:87], a[98:99], v[38:39], v[84:87]// 000000007928: D3F30054 0D524D62
	v_mfma_f32_16x16x32_fp8_fp8 v[88:91], a[114:115], v[38:39], v[88:91]// 000000007930: D3F30058 0D624D72
	s_waitcnt lgkmcnt(6)                                       // 000000007938: BF8CC67F
	v_mfma_f32_16x16x32_fp8_fp8 v[84:87], a[100:101], v[40:41], v[84:87]// 00000000793C: D3F30054 0D525164
	v_mfma_f32_16x16x32_fp8_fp8 v[88:91], a[116:117], v[40:41], v[88:91]// 000000007944: D3F30058 0D625174
	v_mfma_f32_16x16x32_fp8_fp8 v[84:87], a[102:103], v[42:43], v[84:87]// 00000000794C: D3F30054 0D525566
	v_mfma_f32_16x16x32_fp8_fp8 v[88:91], a[118:119], v[42:43], v[88:91]// 000000007954: D3F30058 0D625576
	s_waitcnt lgkmcnt(5)                                       // 00000000795C: BF8CC57F
	v_mfma_f32_16x16x32_fp8_fp8 v[84:87], a[104:105], v[44:45], v[84:87]// 000000007960: D3F30054 0D525968
	v_mfma_f32_16x16x32_fp8_fp8 v[88:91], a[120:121], v[44:45], v[88:91]// 000000007968: D3F30058 0D625978
	v_mfma_f32_16x16x32_fp8_fp8 v[84:87], a[106:107], v[46:47], v[84:87]// 000000007970: D3F30054 0D525D6A
	v_mfma_f32_16x16x32_fp8_fp8 v[88:91], a[122:123], v[46:47], v[88:91]// 000000007978: D3F30058 0D625D7A
	s_waitcnt lgkmcnt(4)                                       // 000000007980: BF8CC47F
	v_mfma_f32_16x16x32_fp8_fp8 v[84:87], a[108:109], v[48:49], v[84:87]// 000000007984: D3F30054 0D52616C
	v_mfma_f32_16x16x32_fp8_fp8 v[88:91], a[124:125], v[48:49], v[88:91]// 00000000798C: D3F30058 0D62617C
	v_mfma_f32_16x16x32_fp8_fp8 v[84:87], a[110:111], v[50:51], v[84:87]// 000000007994: D3F30054 0D52656E
	v_mfma_f32_16x16x32_fp8_fp8 v[88:91], a[126:127], v[50:51], v[88:91]// 00000000799C: D3F30058 0D62657E
	s_waitcnt lgkmcnt(3)                                       // 0000000079A4: BF8CC37F
	v_mfma_f32_16x16x32_fp8_fp8 v[92:95], a[96:97], v[52:53], 0// 0000000079A8: D3F3005C 0A026960
	v_mfma_f32_16x16x32_fp8_fp8 v[96:99], a[112:113], v[52:53], 0// 0000000079B0: D3F30060 0A026970
	v_mfma_f32_16x16x32_fp8_fp8 v[92:95], a[98:99], v[54:55], v[92:95]// 0000000079B8: D3F3005C 0D726D62
	v_mfma_f32_16x16x32_fp8_fp8 v[96:99], a[114:115], v[54:55], v[96:99]// 0000000079C0: D3F30060 0D826D72
	s_waitcnt lgkmcnt(2)                                       // 0000000079C8: BF8CC27F
	v_mfma_f32_16x16x32_fp8_fp8 v[92:95], a[100:101], v[56:57], v[92:95]// 0000000079CC: D3F3005C 0D727164
	v_mfma_f32_16x16x32_fp8_fp8 v[96:99], a[116:117], v[56:57], v[96:99]// 0000000079D4: D3F30060 0D827174
	v_mfma_f32_16x16x32_fp8_fp8 v[92:95], a[102:103], v[58:59], v[92:95]// 0000000079DC: D3F3005C 0D727566
	v_mfma_f32_16x16x32_fp8_fp8 v[96:99], a[118:119], v[58:59], v[96:99]// 0000000079E4: D3F30060 0D827576
	s_waitcnt lgkmcnt(1)                                       // 0000000079EC: BF8CC17F
	v_mfma_f32_16x16x32_fp8_fp8 v[92:95], a[104:105], v[60:61], v[92:95]// 0000000079F0: D3F3005C 0D727968
	v_mfma_f32_16x16x32_fp8_fp8 v[96:99], a[120:121], v[60:61], v[96:99]// 0000000079F8: D3F30060 0D827978
	v_mfma_f32_16x16x32_fp8_fp8 v[92:95], a[106:107], v[62:63], v[92:95]// 000000007A00: D3F3005C 0D727D6A
	v_mfma_f32_16x16x32_fp8_fp8 v[96:99], a[122:123], v[62:63], v[96:99]// 000000007A08: D3F30060 0D827D7A
	s_waitcnt lgkmcnt(0)                                       // 000000007A10: BF8CC07F
	v_mfma_f32_16x16x32_fp8_fp8 v[92:95], a[108:109], v[64:65], v[92:95]// 000000007A14: D3F3005C 0D72816C
	v_mfma_f32_16x16x32_fp8_fp8 v[96:99], a[124:125], v[64:65], v[96:99]// 000000007A1C: D3F30060 0D82817C
	v_mfma_f32_16x16x32_fp8_fp8 v[92:95], a[110:111], v[66:67], v[92:95]// 000000007A24: D3F3005C 0D72856E
	v_mfma_f32_16x16x32_fp8_fp8 v[96:99], a[126:127], v[66:67], v[96:99]// 000000007A2C: D3F30060 0D82857E
	s_addk_i32 s64, 0x100                                      // 000000007A34: B7400100
	s_branch label_150F                                        // 000000007A38: BF820000

0000000000007a3c <label_150F>:
	s_cmp_lt_i32 s64, s63                                      // 000000007A3C: BF043F40
	s_cbranch_scc0 label_238F                                  // 000000007A40: BF840E7E
	s_waitcnt vmcnt(10)                                        // 000000007A44: BF8C0F7A
	s_lshl_b32 s68, s76, 2                                     // 000000007A48: 8E44824C
	s_cmp_lt_u32 s76, s77                                      // 000000007A4C: BF0A4D4C
	s_cselect_b32 s68, s68, 0                                  // 000000007A50: 85448044
	s_addk_i32 s76, 0x1                                        // 000000007A54: B74C0001
	s_load_dword s59, s[42:43], s68                            // 000000007A58: C0000ED5 00000044
	s_waitcnt lgkmcnt(0)                                       // 000000007A60: BF8CC07F
	s_mul_i32 s69, s59, s50                                    // 000000007A64: 9245323B
	s_mul_i32 s71, s59, s66                                    // 000000007A68: 9247423B
	s_mul_i32 s54, s78, s51                                    // 000000007A6C: 9236334E
	s_add_u32 s69, s69, s54                                    // 000000007A70: 80453645
	s_mov_b32 s70, s69                                         // 000000007A74: BEC60045
	s_mul_i32 s54, s78, 4                                      // 000000007A78: 9236844E
	s_add_u32 s71, s71, s54                                    // 000000007A7C: 80473647
	s_add_u32 s12, s86, s69                                    // 000000007A80: 800C4556
	s_addc_u32 s13, s87, 0                                     // 000000007A84: 820D8057
	s_add_u32 s16, s88, s70                                    // 000000007A88: 80104658
	s_addc_u32 s17, s89, 0                                     // 000000007A8C: 82118059
	s_add_u32 s20, s90, s71                                    // 000000007A90: 8014475A
	s_addc_u32 s21, s91, 0                                     // 000000007A94: 8215805B
	s_add_u32 s24, s92, s71                                    // 000000007A98: 8018475C
	s_addc_u32 s25, s93, 0                                     // 000000007A9C: 8219805D
	v_mfma_f32_16x16x32_fp8_fp8 v[4:7], a[64:65], a[0:1], 0    // 000000007AA0: D3F30004 1A020140
	v_mfma_f32_16x16x32_fp8_fp8 v[4:7], a[66:67], a[2:3], v[4:7]// 000000007AA8: D3F30004 1C120542
	v_mfma_f32_16x16x32_fp8_fp8 v[4:7], a[68:69], a[4:5], v[4:7]// 000000007AB0: D3F30004 1C120944
	buffer_load_dwordx4 a[32:35], v225, s[12:15], 0 offen      // 000000007AB8: E05C1000 808320E1
	v_mfma_f32_16x16x32_fp8_fp8 v[4:7], a[70:71], a[6:7], v[4:7]// 000000007AC0: D3F30004 1C120D46
	v_mfma_f32_16x16x32_fp8_fp8 v[8:11], a[72:73], a[0:1], 0   // 000000007AC8: D3F30008 1A020148
	v_mfma_f32_16x16x32_fp8_fp8 v[8:11], a[74:75], a[2:3], v[8:11]// 000000007AD0: D3F30008 1C22054A
	v_mfma_f32_16x16x32_fp8_fp8 v[8:11], a[76:77], a[4:5], v[8:11]// 000000007AD8: D3F30008 1C22094C
	buffer_load_dwordx4 a[36:39], v226, s[12:15], 0 offen      // 000000007AE0: E05C1000 808324E2
	v_mfma_f32_16x16x32_fp8_fp8 v[8:11], a[78:79], a[6:7], v[8:11]// 000000007AE8: D3F30008 1C220D4E
	v_mfma_f32_16x16x32_fp8_fp8 v[12:15], a[80:81], a[0:1], 0  // 000000007AF0: D3F3000C 1A020150
	v_mfma_f32_16x16x32_fp8_fp8 v[12:15], a[82:83], a[2:3], v[12:15]// 000000007AF8: D3F3000C 1C320552
	v_mfma_f32_16x16x32_fp8_fp8 v[12:15], a[84:85], a[4:5], v[12:15]// 000000007B00: D3F3000C 1C320954
	buffer_load_dwordx4 a[40:43], v225, s[12:15], 0 offen offset:1024// 000000007B08: E05C1400 808328E1
	v_mfma_f32_16x16x32_fp8_fp8 v[12:15], a[86:87], a[6:7], v[12:15]// 000000007B10: D3F3000C 1C320D56
	v_mfma_f32_16x16x32_fp8_fp8 v[16:19], a[88:89], a[0:1], 0  // 000000007B18: D3F30010 1A020158
	v_mfma_f32_16x16x32_fp8_fp8 v[16:19], a[90:91], a[2:3], v[16:19]// 000000007B20: D3F30010 1C42055A
	v_mfma_f32_16x16x32_fp8_fp8 v[16:19], a[92:93], a[4:5], v[16:19]// 000000007B28: D3F30010 1C42095C
	buffer_load_dwordx4 a[44:47], v226, s[12:15], 0 offen offset:1024// 000000007B30: E05C1400 80832CE2
	v_mfma_f32_16x16x32_fp8_fp8 v[16:19], a[94:95], a[6:7], v[16:19]// 000000007B38: D3F30010 1C420D5E
	v_mfma_f32_16x16x32_fp8_fp8 v[20:23], a[64:65], a[8:9], 0  // 000000007B40: D3F30014 1A021140
	v_mfma_f32_16x16x32_fp8_fp8 v[20:23], a[66:67], a[10:11], v[20:23]// 000000007B48: D3F30014 1C521542
	v_mfma_f32_16x16x32_fp8_fp8 v[20:23], a[68:69], a[12:13], v[20:23]// 000000007B50: D3F30014 1C521944
	buffer_load_dwordx4 a[48:51], v225, s[12:15], 0 offen offset:2048// 000000007B58: E05C1800 808330E1
	v_mfma_f32_16x16x32_fp8_fp8 v[20:23], a[70:71], a[14:15], v[20:23]// 000000007B60: D3F30014 1C521D46
	v_mfma_f32_16x16x32_fp8_fp8 v[24:27], a[72:73], a[8:9], 0  // 000000007B68: D3F30018 1A021148
	v_mfma_f32_16x16x32_fp8_fp8 v[24:27], a[74:75], a[10:11], v[24:27]// 000000007B70: D3F30018 1C62154A
	v_mfma_f32_16x16x32_fp8_fp8 v[24:27], a[76:77], a[12:13], v[24:27]// 000000007B78: D3F30018 1C62194C
	buffer_load_dwordx4 a[52:55], v226, s[12:15], 0 offen offset:2048// 000000007B80: E05C1800 808334E2
	v_mfma_f32_16x16x32_fp8_fp8 v[24:27], a[78:79], a[14:15], v[24:27]// 000000007B88: D3F30018 1C621D4E
	v_mfma_f32_16x16x32_fp8_fp8 v[28:31], a[80:81], a[8:9], 0  // 000000007B90: D3F3001C 1A021150
	v_mfma_f32_16x16x32_fp8_fp8 v[28:31], a[82:83], a[10:11], v[28:31]// 000000007B98: D3F3001C 1C721552
	v_mfma_f32_16x16x32_fp8_fp8 v[28:31], a[84:85], a[12:13], v[28:31]// 000000007BA0: D3F3001C 1C721954
	buffer_load_dwordx4 a[56:59], v225, s[12:15], 0 offen offset:3072// 000000007BA8: E05C1C00 808338E1
	v_mfma_f32_16x16x32_fp8_fp8 v[28:31], a[86:87], a[14:15], v[28:31]// 000000007BB0: D3F3001C 1C721D56
	v_mfma_f32_16x16x32_fp8_fp8 v[32:35], a[88:89], a[8:9], 0  // 000000007BB8: D3F30020 1A021158
	v_mfma_f32_16x16x32_fp8_fp8 v[32:35], a[90:91], a[10:11], v[32:35]// 000000007BC0: D3F30020 1C82155A
	v_mfma_f32_16x16x32_fp8_fp8 v[32:35], a[92:93], a[12:13], v[32:35]// 000000007BC8: D3F30020 1C82195C
	buffer_load_dwordx4 a[60:63], v226, s[12:15], 0 offen offset:3072// 000000007BD0: E05C1C00 80833CE2
	v_mfma_f32_16x16x32_fp8_fp8 v[32:35], a[94:95], a[14:15], v[32:35]// 000000007BD8: D3F30020 1C821D5E
	v_mfma_f32_16x16x32_fp8_fp8 v[36:39], a[64:65], a[16:17], 0// 000000007BE0: D3F30024 1A022140
	v_mfma_f32_16x16x32_fp8_fp8 v[36:39], a[66:67], a[18:19], v[36:39]// 000000007BE8: D3F30024 1C922542
	v_mfma_f32_16x16x32_fp8_fp8 v[36:39], a[68:69], a[20:21], v[36:39]// 000000007BF0: D3F30024 1C922944
	v_mfma_f32_16x16x32_fp8_fp8 v[36:39], a[70:71], a[22:23], v[36:39]// 000000007BF8: D3F30024 1C922D46
	v_mfma_f32_16x16x32_fp8_fp8 v[40:43], a[72:73], a[16:17], 0// 000000007C00: D3F30028 1A022148
	v_mfma_f32_16x16x32_fp8_fp8 v[40:43], a[74:75], a[18:19], v[40:43]// 000000007C08: D3F30028 1CA2254A
	v_mfma_f32_16x16x32_fp8_fp8 v[40:43], a[76:77], a[20:21], v[40:43]// 000000007C10: D3F30028 1CA2294C
	v_mfma_f32_16x16x32_fp8_fp8 v[40:43], a[78:79], a[22:23], v[40:43]// 000000007C18: D3F30028 1CA22D4E
	v_mfma_f32_16x16x32_fp8_fp8 v[44:47], a[80:81], a[16:17], 0// 000000007C20: D3F3002C 1A022150
	v_mfma_f32_16x16x32_fp8_fp8 v[44:47], a[82:83], a[18:19], v[44:47]// 000000007C28: D3F3002C 1CB22552
	v_mfma_f32_16x16x32_fp8_fp8 v[44:47], a[84:85], a[20:21], v[44:47]// 000000007C30: D3F3002C 1CB22954
	v_mfma_f32_16x16x32_fp8_fp8 v[44:47], a[86:87], a[22:23], v[44:47]// 000000007C38: D3F3002C 1CB22D56
	v_mfma_f32_16x16x32_fp8_fp8 v[48:51], a[88:89], a[16:17], 0// 000000007C40: D3F30030 1A022158
	v_mfma_f32_16x16x32_fp8_fp8 v[48:51], a[90:91], a[18:19], v[48:51]// 000000007C48: D3F30030 1CC2255A
	v_mfma_f32_16x16x32_fp8_fp8 v[48:51], a[92:93], a[20:21], v[48:51]// 000000007C50: D3F30030 1CC2295C
	v_mfma_f32_16x16x32_fp8_fp8 v[48:51], a[94:95], a[22:23], v[48:51]// 000000007C58: D3F30030 1CC22D5E
	v_mfma_f32_16x16x32_fp8_fp8 v[52:55], a[64:65], a[24:25], 0// 000000007C60: D3F30034 1A023140
	v_mfma_f32_16x16x32_fp8_fp8 v[52:55], a[66:67], a[26:27], v[52:55]// 000000007C68: D3F30034 1CD23542
	v_mfma_f32_16x16x32_fp8_fp8 v[52:55], a[68:69], a[28:29], v[52:55]// 000000007C70: D3F30034 1CD23944
	v_mfma_f32_16x16x32_fp8_fp8 v[52:55], a[70:71], a[30:31], v[52:55]// 000000007C78: D3F30034 1CD23D46
	v_mfma_f32_16x16x32_fp8_fp8 v[56:59], a[72:73], a[24:25], 0// 000000007C80: D3F30038 1A023148
	v_mfma_f32_16x16x32_fp8_fp8 v[56:59], a[74:75], a[26:27], v[56:59]// 000000007C88: D3F30038 1CE2354A
	v_mfma_f32_16x16x32_fp8_fp8 v[56:59], a[76:77], a[28:29], v[56:59]// 000000007C90: D3F30038 1CE2394C
	v_mfma_f32_16x16x32_fp8_fp8 v[56:59], a[78:79], a[30:31], v[56:59]// 000000007C98: D3F30038 1CE23D4E
	v_mfma_f32_16x16x32_fp8_fp8 v[60:63], a[80:81], a[24:25], 0// 000000007CA0: D3F3003C 1A023150
	v_mfma_f32_16x16x32_fp8_fp8 v[60:63], a[82:83], a[26:27], v[60:63]// 000000007CA8: D3F3003C 1CF23552
	v_mfma_f32_16x16x32_fp8_fp8 v[60:63], a[84:85], a[28:29], v[60:63]// 000000007CB0: D3F3003C 1CF23954
	v_mfma_f32_16x16x32_fp8_fp8 v[60:63], a[86:87], a[30:31], v[60:63]// 000000007CB8: D3F3003C 1CF23D56
	v_mfma_f32_16x16x32_fp8_fp8 v[64:67], a[88:89], a[24:25], 0// 000000007CC0: D3F30040 1A023158
	v_mfma_f32_16x16x32_fp8_fp8 v[64:67], a[90:91], a[26:27], v[64:67]// 000000007CC8: D3F30040 1D02355A
	v_mfma_f32_16x16x32_fp8_fp8 v[64:67], a[92:93], a[28:29], v[64:67]// 000000007CD0: D3F30040 1D02395C
	v_mfma_f32_16x16x32_fp8_fp8 v[64:67], a[94:95], a[30:31], v[64:67]// 000000007CD8: D3F30040 1D023D5E
	s_waitcnt vmcnt(16)                                        // 000000007CE0: BF8C4F70
	v_pk_mul_f32 v[4:5], v[132:133], v[4:5]                    // 000000007CE4: D3B14004 18020984
	v_pk_mul_f32 v[6:7], v[132:133], v[6:7]                    // 000000007CEC: D3B14006 18020D84
	v_mul_f32_dpp v4, v141, v4 row_newbcast:0 row_mask:0xf bank_mask:0xf// 000000007CF4: 0A0808FA FF01508D
	v_mul_f32_dpp v5, v141, v5 row_newbcast:1 row_mask:0xf bank_mask:0xf// 000000007CFC: 0A0A0AFA FF01518D
	v_mul_f32_dpp v6, v141, v6 row_newbcast:2 row_mask:0xf bank_mask:0xf// 000000007D04: 0A0C0CFA FF01528D
	v_mul_f32_dpp v7, v141, v7 row_newbcast:3 row_mask:0xf bank_mask:0xf// 000000007D0C: 0A0E0EFA FF01538D
	v_pk_mul_f32 v[8:9], v[132:133], v[8:9]                    // 000000007D14: D3B14008 18021184
	v_pk_mul_f32 v[10:11], v[132:133], v[10:11]                // 000000007D1C: D3B1400A 18021584
	v_mul_f32_dpp v8, v141, v8 row_newbcast:4 row_mask:0xf bank_mask:0xf// 000000007D24: 0A1010FA FF01548D
	v_mul_f32_dpp v9, v141, v9 row_newbcast:5 row_mask:0xf bank_mask:0xf// 000000007D2C: 0A1212FA FF01558D
	v_mul_f32_dpp v10, v141, v10 row_newbcast:6 row_mask:0xf bank_mask:0xf// 000000007D34: 0A1414FA FF01568D
	v_mul_f32_dpp v11, v141, v11 row_newbcast:7 row_mask:0xf bank_mask:0xf// 000000007D3C: 0A1616FA FF01578D
	v_pk_mul_f32 v[12:13], v[132:133], v[12:13]                // 000000007D44: D3B1400C 18021984
	v_pk_mul_f32 v[14:15], v[132:133], v[14:15]                // 000000007D4C: D3B1400E 18021D84
	v_mul_f32_dpp v12, v141, v12 row_newbcast:8 row_mask:0xf bank_mask:0xf// 000000007D54: 0A1818FA FF01588D
	v_mul_f32_dpp v13, v141, v13 row_newbcast:9 row_mask:0xf bank_mask:0xf// 000000007D5C: 0A1A1AFA FF01598D
	v_mul_f32_dpp v14, v141, v14 row_newbcast:10 row_mask:0xf bank_mask:0xf// 000000007D64: 0A1C1CFA FF015A8D
	v_mul_f32_dpp v15, v141, v15 row_newbcast:11 row_mask:0xf bank_mask:0xf// 000000007D6C: 0A1E1EFA FF015B8D
	v_pk_mul_f32 v[16:17], v[132:133], v[16:17]                // 000000007D74: D3B14010 18022184
	v_pk_mul_f32 v[18:19], v[132:133], v[18:19]                // 000000007D7C: D3B14012 18022584
	v_mul_f32_dpp v16, v141, v16 row_newbcast:12 row_mask:0xf bank_mask:0xf// 000000007D84: 0A2020FA FF015C8D
	v_mul_f32_dpp v17, v141, v17 row_newbcast:13 row_mask:0xf bank_mask:0xf// 000000007D8C: 0A2222FA FF015D8D
	v_mul_f32_dpp v18, v141, v18 row_newbcast:14 row_mask:0xf bank_mask:0xf// 000000007D94: 0A2424FA FF015E8D
	v_mul_f32_dpp v19, v141, v19 row_newbcast:15 row_mask:0xf bank_mask:0xf// 000000007D9C: 0A2626FA FF015F8D
	v_pk_mul_f32 v[20:21], v[134:135], v[20:21]                // 000000007DA4: D3B14014 18022986
	v_pk_mul_f32 v[22:23], v[134:135], v[22:23]                // 000000007DAC: D3B14016 18022D86
	v_mul_f32_dpp v20, v141, v20 row_newbcast:0 row_mask:0xf bank_mask:0xf// 000000007DB4: 0A2828FA FF01508D
	v_mul_f32_dpp v21, v141, v21 row_newbcast:1 row_mask:0xf bank_mask:0xf// 000000007DBC: 0A2A2AFA FF01518D
	v_mul_f32_dpp v22, v141, v22 row_newbcast:2 row_mask:0xf bank_mask:0xf// 000000007DC4: 0A2C2CFA FF01528D
	v_mul_f32_dpp v23, v141, v23 row_newbcast:3 row_mask:0xf bank_mask:0xf// 000000007DCC: 0A2E2EFA FF01538D
	v_pk_mul_f32 v[24:25], v[134:135], v[24:25]                // 000000007DD4: D3B14018 18023186
	v_pk_mul_f32 v[26:27], v[134:135], v[26:27]                // 000000007DDC: D3B1401A 18023586
	v_mul_f32_dpp v24, v141, v24 row_newbcast:4 row_mask:0xf bank_mask:0xf// 000000007DE4: 0A3030FA FF01548D
	v_mul_f32_dpp v25, v141, v25 row_newbcast:5 row_mask:0xf bank_mask:0xf// 000000007DEC: 0A3232FA FF01558D
	v_mul_f32_dpp v26, v141, v26 row_newbcast:6 row_mask:0xf bank_mask:0xf// 000000007DF4: 0A3434FA FF01568D
	v_mul_f32_dpp v27, v141, v27 row_newbcast:7 row_mask:0xf bank_mask:0xf// 000000007DFC: 0A3636FA FF01578D
	v_pk_mul_f32 v[28:29], v[134:135], v[28:29]                // 000000007E04: D3B1401C 18023986
	v_pk_mul_f32 v[30:31], v[134:135], v[30:31]                // 000000007E0C: D3B1401E 18023D86
	v_mul_f32_dpp v28, v141, v28 row_newbcast:8 row_mask:0xf bank_mask:0xf// 000000007E14: 0A3838FA FF01588D
	v_mul_f32_dpp v29, v141, v29 row_newbcast:9 row_mask:0xf bank_mask:0xf// 000000007E1C: 0A3A3AFA FF01598D
	v_mul_f32_dpp v30, v141, v30 row_newbcast:10 row_mask:0xf bank_mask:0xf// 000000007E24: 0A3C3CFA FF015A8D
	v_mul_f32_dpp v31, v141, v31 row_newbcast:11 row_mask:0xf bank_mask:0xf// 000000007E2C: 0A3E3EFA FF015B8D
	v_pk_mul_f32 v[32:33], v[134:135], v[32:33]                // 000000007E34: D3B14020 18024186
	v_pk_mul_f32 v[34:35], v[134:135], v[34:35]                // 000000007E3C: D3B14022 18024586
	v_mul_f32_dpp v32, v141, v32 row_newbcast:12 row_mask:0xf bank_mask:0xf// 000000007E44: 0A4040FA FF015C8D
	v_mul_f32_dpp v33, v141, v33 row_newbcast:13 row_mask:0xf bank_mask:0xf// 000000007E4C: 0A4242FA FF015D8D
	v_mul_f32_dpp v34, v141, v34 row_newbcast:14 row_mask:0xf bank_mask:0xf// 000000007E54: 0A4444FA FF015E8D
	v_mul_f32_dpp v35, v141, v35 row_newbcast:15 row_mask:0xf bank_mask:0xf// 000000007E5C: 0A4646FA FF015F8D
	v_pk_mul_f32 v[36:37], v[136:137], v[36:37]                // 000000007E64: D3B14024 18024988
	v_pk_mul_f32 v[38:39], v[136:137], v[38:39]                // 000000007E6C: D3B14026 18024D88
	v_mul_f32_dpp v36, v141, v36 row_newbcast:0 row_mask:0xf bank_mask:0xf// 000000007E74: 0A4848FA FF01508D
	v_mul_f32_dpp v37, v141, v37 row_newbcast:1 row_mask:0xf bank_mask:0xf// 000000007E7C: 0A4A4AFA FF01518D
	v_mul_f32_dpp v38, v141, v38 row_newbcast:2 row_mask:0xf bank_mask:0xf// 000000007E84: 0A4C4CFA FF01528D
	v_mul_f32_dpp v39, v141, v39 row_newbcast:3 row_mask:0xf bank_mask:0xf// 000000007E8C: 0A4E4EFA FF01538D
	v_pk_mul_f32 v[40:41], v[136:137], v[40:41]                // 000000007E94: D3B14028 18025188
	v_pk_mul_f32 v[42:43], v[136:137], v[42:43]                // 000000007E9C: D3B1402A 18025588
	v_mul_f32_dpp v40, v141, v40 row_newbcast:4 row_mask:0xf bank_mask:0xf// 000000007EA4: 0A5050FA FF01548D
	v_mul_f32_dpp v41, v141, v41 row_newbcast:5 row_mask:0xf bank_mask:0xf// 000000007EAC: 0A5252FA FF01558D
	v_mul_f32_dpp v42, v141, v42 row_newbcast:6 row_mask:0xf bank_mask:0xf// 000000007EB4: 0A5454FA FF01568D
	v_mul_f32_dpp v43, v141, v43 row_newbcast:7 row_mask:0xf bank_mask:0xf// 000000007EBC: 0A5656FA FF01578D
	v_pk_mul_f32 v[44:45], v[136:137], v[44:45]                // 000000007EC4: D3B1402C 18025988
	v_pk_mul_f32 v[46:47], v[136:137], v[46:47]                // 000000007ECC: D3B1402E 18025D88
	v_mul_f32_dpp v44, v141, v44 row_newbcast:8 row_mask:0xf bank_mask:0xf// 000000007ED4: 0A5858FA FF01588D
	v_mul_f32_dpp v45, v141, v45 row_newbcast:9 row_mask:0xf bank_mask:0xf// 000000007EDC: 0A5A5AFA FF01598D
	v_mul_f32_dpp v46, v141, v46 row_newbcast:10 row_mask:0xf bank_mask:0xf// 000000007EE4: 0A5C5CFA FF015A8D
	v_mul_f32_dpp v47, v141, v47 row_newbcast:11 row_mask:0xf bank_mask:0xf// 000000007EEC: 0A5E5EFA FF015B8D
	v_pk_mul_f32 v[48:49], v[136:137], v[48:49]                // 000000007EF4: D3B14030 18026188
	v_pk_mul_f32 v[50:51], v[136:137], v[50:51]                // 000000007EFC: D3B14032 18026588
	v_mul_f32_dpp v48, v141, v48 row_newbcast:12 row_mask:0xf bank_mask:0xf// 000000007F04: 0A6060FA FF015C8D
	v_mul_f32_dpp v49, v141, v49 row_newbcast:13 row_mask:0xf bank_mask:0xf// 000000007F0C: 0A6262FA FF015D8D
	v_mul_f32_dpp v50, v141, v50 row_newbcast:14 row_mask:0xf bank_mask:0xf// 000000007F14: 0A6464FA FF015E8D
	v_mul_f32_dpp v51, v141, v51 row_newbcast:15 row_mask:0xf bank_mask:0xf// 000000007F1C: 0A6666FA FF015F8D
	v_pk_mul_f32 v[52:53], v[138:139], v[52:53]                // 000000007F24: D3B14034 1802698A
	v_pk_mul_f32 v[54:55], v[138:139], v[54:55]                // 000000007F2C: D3B14036 18026D8A
	v_mul_f32_dpp v52, v141, v52 row_newbcast:0 row_mask:0xf bank_mask:0xf// 000000007F34: 0A6868FA FF01508D
	v_mul_f32_dpp v53, v141, v53 row_newbcast:1 row_mask:0xf bank_mask:0xf// 000000007F3C: 0A6A6AFA FF01518D
	v_mul_f32_dpp v54, v141, v54 row_newbcast:2 row_mask:0xf bank_mask:0xf// 000000007F44: 0A6C6CFA FF01528D
	v_mul_f32_dpp v55, v141, v55 row_newbcast:3 row_mask:0xf bank_mask:0xf// 000000007F4C: 0A6E6EFA FF01538D
	v_pk_mul_f32 v[56:57], v[138:139], v[56:57]                // 000000007F54: D3B14038 1802718A
	v_pk_mul_f32 v[58:59], v[138:139], v[58:59]                // 000000007F5C: D3B1403A 1802758A
	v_mul_f32_dpp v56, v141, v56 row_newbcast:4 row_mask:0xf bank_mask:0xf// 000000007F64: 0A7070FA FF01548D
	v_mul_f32_dpp v57, v141, v57 row_newbcast:5 row_mask:0xf bank_mask:0xf// 000000007F6C: 0A7272FA FF01558D
	v_mul_f32_dpp v58, v141, v58 row_newbcast:6 row_mask:0xf bank_mask:0xf// 000000007F74: 0A7474FA FF01568D
	v_mul_f32_dpp v59, v141, v59 row_newbcast:7 row_mask:0xf bank_mask:0xf// 000000007F7C: 0A7676FA FF01578D
	v_pk_mul_f32 v[60:61], v[138:139], v[60:61]                // 000000007F84: D3B1403C 1802798A
	v_pk_mul_f32 v[62:63], v[138:139], v[62:63]                // 000000007F8C: D3B1403E 18027D8A
	v_mul_f32_dpp v60, v141, v60 row_newbcast:8 row_mask:0xf bank_mask:0xf// 000000007F94: 0A7878FA FF01588D
	v_mul_f32_dpp v61, v141, v61 row_newbcast:9 row_mask:0xf bank_mask:0xf// 000000007F9C: 0A7A7AFA FF01598D
	v_mul_f32_dpp v62, v141, v62 row_newbcast:10 row_mask:0xf bank_mask:0xf// 000000007FA4: 0A7C7CFA FF015A8D
	v_mul_f32_dpp v63, v141, v63 row_newbcast:11 row_mask:0xf bank_mask:0xf// 000000007FAC: 0A7E7EFA FF015B8D
	v_pk_mul_f32 v[64:65], v[138:139], v[64:65]                // 000000007FB4: D3B14040 1802818A
	v_pk_mul_f32 v[66:67], v[138:139], v[66:67]                // 000000007FBC: D3B14042 1802858A
	v_mul_f32_dpp v64, v141, v64 row_newbcast:12 row_mask:0xf bank_mask:0xf// 000000007FC4: 0A8080FA FF015C8D
	v_mul_f32_dpp v65, v141, v65 row_newbcast:13 row_mask:0xf bank_mask:0xf// 000000007FCC: 0A8282FA FF015D8D
	v_mul_f32_dpp v66, v141, v66 row_newbcast:14 row_mask:0xf bank_mask:0xf// 000000007FD4: 0A8484FA FF015E8D
	v_mul_f32_dpp v67, v141, v67 row_newbcast:15 row_mask:0xf bank_mask:0xf// 000000007FDC: 0A8686FA FF015F8D
	v_mov_b32_e32 v176, v4                                     // 000000007FE4: 7F600304
	v_max3_f32 v176, v4, v5, v176                              // 000000007FE8: D1D300B0 06C20B04
	v_max3_f32 v176, v6, v7, v176                              // 000000007FF0: D1D300B0 06C20F06
	v_max3_f32 v176, v8, v9, v176                              // 000000007FF8: D1D300B0 06C21308
	v_max3_f32 v176, v10, v11, v176                            // 000000008000: D1D300B0 06C2170A
	v_max3_f32 v176, v12, v13, v176                            // 000000008008: D1D300B0 06C21B0C
	v_max3_f32 v176, v14, v15, v176                            // 000000008010: D1D300B0 06C21F0E
	v_max3_f32 v176, v16, v17, v176                            // 000000008018: D1D300B0 06C22310
	v_max3_f32 v176, v18, v19, v176                            // 000000008020: D1D300B0 06C22712
	v_mov_b32_e32 v177, v20                                    // 000000008028: 7F620314
	v_max3_f32 v177, v20, v21, v177                            // 00000000802C: D1D300B1 06C62B14
	v_max3_f32 v177, v22, v23, v177                            // 000000008034: D1D300B1 06C62F16
	v_max3_f32 v177, v24, v25, v177                            // 00000000803C: D1D300B1 06C63318
	v_max3_f32 v177, v26, v27, v177                            // 000000008044: D1D300B1 06C6371A
	v_max3_f32 v177, v28, v29, v177                            // 00000000804C: D1D300B1 06C63B1C
	v_max3_f32 v177, v30, v31, v177                            // 000000008054: D1D300B1 06C63F1E
	v_max3_f32 v177, v32, v33, v177                            // 00000000805C: D1D300B1 06C64320
	v_max3_f32 v177, v34, v35, v177                            // 000000008064: D1D300B1 06C64722
	v_mov_b32_e32 v178, v36                                    // 00000000806C: 7F640324
	v_max3_f32 v178, v36, v37, v178                            // 000000008070: D1D300B2 06CA4B24
	v_max3_f32 v178, v38, v39, v178                            // 000000008078: D1D300B2 06CA4F26
	v_max3_f32 v178, v40, v41, v178                            // 000000008080: D1D300B2 06CA5328
	v_max3_f32 v178, v42, v43, v178                            // 000000008088: D1D300B2 06CA572A
	v_max3_f32 v178, v44, v45, v178                            // 000000008090: D1D300B2 06CA5B2C
	v_max3_f32 v178, v46, v47, v178                            // 000000008098: D1D300B2 06CA5F2E
	v_max3_f32 v178, v48, v49, v178                            // 0000000080A0: D1D300B2 06CA6330
	v_max3_f32 v178, v50, v51, v178                            // 0000000080A8: D1D300B2 06CA6732
	v_mov_b32_e32 v179, v52                                    // 0000000080B0: 7F660334
	v_max3_f32 v179, v52, v53, v179                            // 0000000080B4: D1D300B3 06CE6B34
	v_max3_f32 v179, v54, v55, v179                            // 0000000080BC: D1D300B3 06CE6F36
	v_max3_f32 v179, v56, v57, v179                            // 0000000080C4: D1D300B3 06CE7338
	v_max3_f32 v179, v58, v59, v179                            // 0000000080CC: D1D300B3 06CE773A
	v_max3_f32 v179, v60, v61, v179                            // 0000000080D4: D1D300B3 06CE7B3C
	v_max3_f32 v179, v62, v63, v179                            // 0000000080DC: D1D300B3 06CE7F3E
	v_max3_f32 v179, v64, v65, v179                            // 0000000080E4: D1D300B3 06CE8340
	v_max3_f32 v179, v66, v67, v179                            // 0000000080EC: D1D300B3 06CE8742
	v_pk_mul_f32 v[100:101], v[160:161], v[100:101]            // 0000000080F4: D3B14064 1802C9A0
	v_pk_mul_f32 v[102:103], v[160:161], v[102:103]            // 0000000080FC: D3B14066 1802CDA0
	v_pk_mul_f32 v[104:105], v[160:161], v[104:105]            // 000000008104: D3B14068 1802D1A0
	v_pk_mul_f32 v[106:107], v[160:161], v[106:107]            // 00000000810C: D3B1406A 1802D5A0
	v_pk_mul_f32 v[108:109], v[162:163], v[108:109]            // 000000008114: D3B1406C 1802D9A2
	v_pk_mul_f32 v[110:111], v[162:163], v[110:111]            // 00000000811C: D3B1406E 1802DDA2
	v_pk_mul_f32 v[112:113], v[162:163], v[112:113]            // 000000008124: D3B14070 1802E1A2
	v_pk_mul_f32 v[114:115], v[162:163], v[114:115]            // 00000000812C: D3B14072 1802E5A2
	v_pk_mul_f32 v[116:117], v[164:165], v[116:117]            // 000000008134: D3B14074 1802E9A4
	v_pk_mul_f32 v[118:119], v[164:165], v[118:119]            // 00000000813C: D3B14076 1802EDA4
	v_pk_mul_f32 v[120:121], v[164:165], v[120:121]            // 000000008144: D3B14078 1802F1A4
	v_pk_mul_f32 v[122:123], v[164:165], v[122:123]            // 00000000814C: D3B1407A 1802F5A4
	v_pk_mul_f32 v[124:125], v[166:167], v[124:125]            // 000000008154: D3B1407C 1802F9A6
	v_pk_mul_f32 v[126:127], v[166:167], v[126:127]            // 00000000815C: D3B1407E 1802FDA6
	v_pk_mul_f32 v[128:129], v[166:167], v[128:129]            // 000000008164: D3B14080 180301A6
	v_pk_mul_f32 v[130:131], v[166:167], v[130:131]            // 00000000816C: D3B14082 180305A6
	ds_bpermute_b32 v180, v200, v176                           // 000000008174: D87E0000 B400B0C8
	ds_bpermute_b32 v181, v201, v176                           // 00000000817C: D87E0000 B500B0C9
	ds_bpermute_b32 v182, v202, v176                           // 000000008184: D87E0000 B600B0CA
	ds_bpermute_b32 v183, v200, v177                           // 00000000818C: D87E0000 B700B1C8
	ds_bpermute_b32 v184, v201, v177                           // 000000008194: D87E0000 B800B1C9
	ds_bpermute_b32 v185, v202, v177                           // 00000000819C: D87E0000 B900B1CA
	ds_bpermute_b32 v186, v200, v178                           // 0000000081A4: D87E0000 BA00B2C8
	ds_bpermute_b32 v187, v201, v178                           // 0000000081AC: D87E0000 BB00B2C9
	ds_bpermute_b32 v188, v202, v178                           // 0000000081B4: D87E0000 BC00B2CA
	ds_bpermute_b32 v189, v200, v179                           // 0000000081BC: D87E0000 BD00B3C8
	ds_bpermute_b32 v190, v201, v179                           // 0000000081C4: D87E0000 BE00B3C9
	ds_bpermute_b32 v191, v202, v179                           // 0000000081CC: D87E0000 BF00B3CA
	s_waitcnt lgkmcnt(9)                                       // 0000000081D4: BF8CC97F
	v_max3_f32 v176, v180, v181, v176                          // 0000000081D8: D1D300B0 06C36BB4
	v_max_f32_e32 v176, v182, v176                             // 0000000081E0: 176161B6
	s_waitcnt lgkmcnt(6)                                       // 0000000081E4: BF8CC67F
	v_max3_f32 v177, v183, v184, v177                          // 0000000081E8: D1D300B1 06C771B7
	v_max_f32_e32 v177, v185, v177                             // 0000000081F0: 176363B9
	s_waitcnt lgkmcnt(3)                                       // 0000000081F4: BF8CC37F
	v_max3_f32 v178, v186, v187, v178                          // 0000000081F8: D1D300B2 06CB77BA
	v_max_f32_e32 v178, v188, v178                             // 000000008200: 176565BC
	s_waitcnt lgkmcnt(0)                                       // 000000008204: BF8CC07F
	v_max3_f32 v179, v189, v190, v179                          // 000000008208: D1D300B3 06CF7DBD
	v_max_f32_e32 v179, v191, v179                             // 000000008210: 176767BF
	ds_write_b128 v247, v[176:179]                             // 000000008214: D9BE0000 0000B0F7
	s_waitcnt lgkmcnt(0)                                       // 00000000821C: BF8CC07F
	s_barrier                                                  // 000000008220: BF8A0000
	v_pk_mul_f32 v[68:69], v[144:145], v[68:69]                // 000000008224: D3B14044 18028990
	v_pk_mul_f32 v[70:71], v[144:145], v[70:71]                // 00000000822C: D3B14046 18028D90
	v_pk_mul_f32 v[72:73], v[144:145], v[72:73]                // 000000008234: D3B14048 18029190
	v_pk_mul_f32 v[74:75], v[144:145], v[74:75]                // 00000000823C: D3B1404A 18029590
	v_pk_mul_f32 v[76:77], v[146:147], v[76:77]                // 000000008244: D3B1404C 18029992
	v_pk_mul_f32 v[78:79], v[146:147], v[78:79]                // 00000000824C: D3B1404E 18029D92
	v_pk_mul_f32 v[80:81], v[146:147], v[80:81]                // 000000008254: D3B14050 1802A192
	v_pk_mul_f32 v[82:83], v[146:147], v[82:83]                // 00000000825C: D3B14052 1802A592
	v_pk_mul_f32 v[84:85], v[148:149], v[84:85]                // 000000008264: D3B14054 1802A994
	v_pk_mul_f32 v[86:87], v[148:149], v[86:87]                // 00000000826C: D3B14056 1802AD94
	v_pk_mul_f32 v[88:89], v[148:149], v[88:89]                // 000000008274: D3B14058 1802B194
	v_pk_mul_f32 v[90:91], v[148:149], v[90:91]                // 00000000827C: D3B1405A 1802B594
	v_pk_mul_f32 v[92:93], v[150:151], v[92:93]                // 000000008284: D3B1405C 1802B996
	v_pk_mul_f32 v[94:95], v[150:151], v[94:95]                // 00000000828C: D3B1405E 1802BD96
	v_pk_mul_f32 v[96:97], v[150:151], v[96:97]                // 000000008294: D3B14060 1802C196
	v_pk_mul_f32 v[98:99], v[150:151], v[98:99]                // 00000000829C: D3B14062 1802C596
	ds_read_b128 v[180:183], v248                              // 0000000082A4: D9FE0000 B40000F8
	ds_read_b128 v[184:187], v248 offset:256                   // 0000000082AC: D9FE0100 B80000F8
	ds_read_b128 v[188:191], v248 offset:512                   // 0000000082B4: D9FE0200 BC0000F8
	ds_read_b128 v[192:195], v248 offset:768                   // 0000000082BC: D9FE0300 C00000F8
	s_waitcnt lgkmcnt(0)                                       // 0000000082C4: BF8CC07F
	v_max3_f32 v176, v180, v184, v176                          // 0000000082C8: D1D300B0 06C371B4
	v_max3_f32 v177, v181, v185, v177                          // 0000000082D0: D1D300B1 06C773B5
	v_max3_f32 v178, v182, v186, v178                          // 0000000082D8: D1D300B2 06CB75B6
	v_max3_f32 v179, v183, v187, v179                          // 0000000082E0: D1D300B3 06CF77B7
	v_max3_f32 v176, v188, v192, v176                          // 0000000082E8: D1D300B0 06C381BC
	v_max3_f32 v177, v189, v193, v177                          // 0000000082F0: D1D300B1 06C783BD
	v_max3_f32 v178, v190, v194, v178                          // 0000000082F8: D1D300B2 06CB85BE
	v_max3_f32 v179, v191, v195, v179                          // 000000008300: D1D300B3 06CF87BF
	v_max_f32_e32 v156, v176, v152                             // 000000008308: 173931B0
	v_mul_f32_e64 v196, -s46, v156                             // 00000000830C: D10500C4 2003382E
	v_mov_b32_e32 v197, v196                                   // 000000008314: 7F8A03C4
	v_pk_fma_f32 v[4:5], v[4:5], s[46:47], v[196:197]          // 000000008318: D3B04004 1F105D04
	v_pk_fma_f32 v[6:7], v[6:7], s[46:47], v[196:197]          // 000000008320: D3B04006 1F105D06
	v_exp_f32_e32 v4, v4                                       // 000000008328: 7E084104
	v_exp_f32_e32 v5, v5                                       // 00000000832C: 7E0A4105
	v_exp_f32_e32 v6, v6                                       // 000000008330: 7E0C4106
	v_exp_f32_e32 v7, v7                                       // 000000008334: 7E0E4107
	v_pk_fma_f32 v[8:9], v[8:9], s[46:47], v[196:197]          // 000000008338: D3B04008 1F105D08
	v_pk_fma_f32 v[10:11], v[10:11], s[46:47], v[196:197]      // 000000008340: D3B0400A 1F105D0A
	v_exp_f32_e32 v8, v8                                       // 000000008348: 7E104108
	v_exp_f32_e32 v9, v9                                       // 00000000834C: 7E124109
	v_exp_f32_e32 v10, v10                                     // 000000008350: 7E14410A
	v_exp_f32_e32 v11, v11                                     // 000000008354: 7E16410B
	v_pk_fma_f32 v[12:13], v[12:13], s[46:47], v[196:197]      // 000000008358: D3B0400C 1F105D0C
	v_pk_fma_f32 v[14:15], v[14:15], s[46:47], v[196:197]      // 000000008360: D3B0400E 1F105D0E
	v_exp_f32_e32 v12, v12                                     // 000000008368: 7E18410C
	v_exp_f32_e32 v13, v13                                     // 00000000836C: 7E1A410D
	v_exp_f32_e32 v14, v14                                     // 000000008370: 7E1C410E
	v_exp_f32_e32 v15, v15                                     // 000000008374: 7E1E410F
	v_pk_fma_f32 v[16:17], v[16:17], s[46:47], v[196:197]      // 000000008378: D3B04010 1F105D10
	v_pk_fma_f32 v[18:19], v[18:19], s[46:47], v[196:197]      // 000000008380: D3B04012 1F105D12
	v_exp_f32_e32 v16, v16                                     // 000000008388: 7E204110
	v_exp_f32_e32 v17, v17                                     // 00000000838C: 7E224111
	v_exp_f32_e32 v18, v18                                     // 000000008390: 7E244112
	v_exp_f32_e32 v19, v19                                     // 000000008394: 7E264113
	v_max_f32_e32 v157, v177, v153                             // 000000008398: 173B33B1
	v_mul_f32_e64 v196, -s46, v157                             // 00000000839C: D10500C4 20033A2E
	v_mov_b32_e32 v197, v196                                   // 0000000083A4: 7F8A03C4
	v_pk_fma_f32 v[20:21], v[20:21], s[46:47], v[196:197]      // 0000000083A8: D3B04014 1F105D14
	v_pk_fma_f32 v[22:23], v[22:23], s[46:47], v[196:197]      // 0000000083B0: D3B04016 1F105D16
	v_exp_f32_e32 v20, v20                                     // 0000000083B8: 7E284114
	v_exp_f32_e32 v21, v21                                     // 0000000083BC: 7E2A4115
	v_exp_f32_e32 v22, v22                                     // 0000000083C0: 7E2C4116
	v_exp_f32_e32 v23, v23                                     // 0000000083C4: 7E2E4117
	v_pk_fma_f32 v[24:25], v[24:25], s[46:47], v[196:197]      // 0000000083C8: D3B04018 1F105D18
	v_pk_fma_f32 v[26:27], v[26:27], s[46:47], v[196:197]      // 0000000083D0: D3B0401A 1F105D1A
	v_exp_f32_e32 v24, v24                                     // 0000000083D8: 7E304118
	v_exp_f32_e32 v25, v25                                     // 0000000083DC: 7E324119
	v_exp_f32_e32 v26, v26                                     // 0000000083E0: 7E34411A
	v_exp_f32_e32 v27, v27                                     // 0000000083E4: 7E36411B
	v_pk_fma_f32 v[28:29], v[28:29], s[46:47], v[196:197]      // 0000000083E8: D3B0401C 1F105D1C
	v_pk_fma_f32 v[30:31], v[30:31], s[46:47], v[196:197]      // 0000000083F0: D3B0401E 1F105D1E
	v_exp_f32_e32 v28, v28                                     // 0000000083F8: 7E38411C
	v_exp_f32_e32 v29, v29                                     // 0000000083FC: 7E3A411D
	v_exp_f32_e32 v30, v30                                     // 000000008400: 7E3C411E
	v_exp_f32_e32 v31, v31                                     // 000000008404: 7E3E411F
	v_pk_fma_f32 v[32:33], v[32:33], s[46:47], v[196:197]      // 000000008408: D3B04020 1F105D20
	v_pk_fma_f32 v[34:35], v[34:35], s[46:47], v[196:197]      // 000000008410: D3B04022 1F105D22
	v_exp_f32_e32 v32, v32                                     // 000000008418: 7E404120
	v_exp_f32_e32 v33, v33                                     // 00000000841C: 7E424121
	v_exp_f32_e32 v34, v34                                     // 000000008420: 7E444122
	v_exp_f32_e32 v35, v35                                     // 000000008424: 7E464123
	v_max_f32_e32 v158, v178, v154                             // 000000008428: 173D35B2
	v_mul_f32_e64 v196, -s46, v158                             // 00000000842C: D10500C4 20033C2E
	v_mov_b32_e32 v197, v196                                   // 000000008434: 7F8A03C4
	v_pk_fma_f32 v[36:37], v[36:37], s[46:47], v[196:197]      // 000000008438: D3B04024 1F105D24
	v_pk_fma_f32 v[38:39], v[38:39], s[46:47], v[196:197]      // 000000008440: D3B04026 1F105D26
	v_exp_f32_e32 v36, v36                                     // 000000008448: 7E484124
	v_exp_f32_e32 v37, v37                                     // 00000000844C: 7E4A4125
	v_exp_f32_e32 v38, v38                                     // 000000008450: 7E4C4126
	v_exp_f32_e32 v39, v39                                     // 000000008454: 7E4E4127
	v_pk_fma_f32 v[40:41], v[40:41], s[46:47], v[196:197]      // 000000008458: D3B04028 1F105D28
	v_pk_fma_f32 v[42:43], v[42:43], s[46:47], v[196:197]      // 000000008460: D3B0402A 1F105D2A
	v_exp_f32_e32 v40, v40                                     // 000000008468: 7E504128
	v_exp_f32_e32 v41, v41                                     // 00000000846C: 7E524129
	v_exp_f32_e32 v42, v42                                     // 000000008470: 7E54412A
	v_exp_f32_e32 v43, v43                                     // 000000008474: 7E56412B
	v_pk_fma_f32 v[44:45], v[44:45], s[46:47], v[196:197]      // 000000008478: D3B0402C 1F105D2C
	v_pk_fma_f32 v[46:47], v[46:47], s[46:47], v[196:197]      // 000000008480: D3B0402E 1F105D2E
	v_exp_f32_e32 v44, v44                                     // 000000008488: 7E58412C
	v_exp_f32_e32 v45, v45                                     // 00000000848C: 7E5A412D
	v_exp_f32_e32 v46, v46                                     // 000000008490: 7E5C412E
	v_exp_f32_e32 v47, v47                                     // 000000008494: 7E5E412F
	v_pk_fma_f32 v[48:49], v[48:49], s[46:47], v[196:197]      // 000000008498: D3B04030 1F105D30
	v_pk_fma_f32 v[50:51], v[50:51], s[46:47], v[196:197]      // 0000000084A0: D3B04032 1F105D32
	v_exp_f32_e32 v48, v48                                     // 0000000084A8: 7E604130
	v_exp_f32_e32 v49, v49                                     // 0000000084AC: 7E624131
	v_exp_f32_e32 v50, v50                                     // 0000000084B0: 7E644132
	v_exp_f32_e32 v51, v51                                     // 0000000084B4: 7E664133
	v_max_f32_e32 v159, v179, v155                             // 0000000084B8: 173F37B3
	v_mul_f32_e64 v196, -s46, v159                             // 0000000084BC: D10500C4 20033E2E
	v_mov_b32_e32 v197, v196                                   // 0000000084C4: 7F8A03C4
	v_pk_fma_f32 v[52:53], v[52:53], s[46:47], v[196:197]      // 0000000084C8: D3B04034 1F105D34
	v_pk_fma_f32 v[54:55], v[54:55], s[46:47], v[196:197]      // 0000000084D0: D3B04036 1F105D36
	v_exp_f32_e32 v52, v52                                     // 0000000084D8: 7E684134
	v_exp_f32_e32 v53, v53                                     // 0000000084DC: 7E6A4135
	v_exp_f32_e32 v54, v54                                     // 0000000084E0: 7E6C4136
	v_exp_f32_e32 v55, v55                                     // 0000000084E4: 7E6E4137
	v_pk_fma_f32 v[56:57], v[56:57], s[46:47], v[196:197]      // 0000000084E8: D3B04038 1F105D38
	v_pk_fma_f32 v[58:59], v[58:59], s[46:47], v[196:197]      // 0000000084F0: D3B0403A 1F105D3A
	v_exp_f32_e32 v56, v56                                     // 0000000084F8: 7E704138
	v_exp_f32_e32 v57, v57                                     // 0000000084FC: 7E724139
	v_exp_f32_e32 v58, v58                                     // 000000008500: 7E74413A
	v_exp_f32_e32 v59, v59                                     // 000000008504: 7E76413B
	v_pk_fma_f32 v[60:61], v[60:61], s[46:47], v[196:197]      // 000000008508: D3B0403C 1F105D3C
	v_pk_fma_f32 v[62:63], v[62:63], s[46:47], v[196:197]      // 000000008510: D3B0403E 1F105D3E
	v_exp_f32_e32 v60, v60                                     // 000000008518: 7E78413C
	v_exp_f32_e32 v61, v61                                     // 00000000851C: 7E7A413D
	v_exp_f32_e32 v62, v62                                     // 000000008520: 7E7C413E
	v_exp_f32_e32 v63, v63                                     // 000000008524: 7E7E413F
	v_pk_fma_f32 v[64:65], v[64:65], s[46:47], v[196:197]      // 000000008528: D3B04040 1F105D40
	v_pk_fma_f32 v[66:67], v[66:67], s[46:47], v[196:197]      // 000000008530: D3B04042 1F105D42
	v_exp_f32_e32 v64, v64                                     // 000000008538: 7E804140
	v_exp_f32_e32 v65, v65                                     // 00000000853C: 7E824141
	v_exp_f32_e32 v66, v66                                     // 000000008540: 7E844142
	v_exp_f32_e32 v67, v67                                     // 000000008544: 7E864143
	v_sub_f32_e32 v160, v152, v156                             // 000000008548: 05413998
	v_cmp_eq_u32_e64 s[98:99], v216, v152                      // 00000000854C: D0CA0062 000331D8
	v_cndmask_b32_e64 v160, v160, 0, s[98:99]                  // 000000008554: D10000A0 018901A0
	v_mov_b32_e32 v152, v156                                   // 00000000855C: 7F30039C
	v_mul_f32_e32 v160, s46, v160                              // 000000008560: 0B41402E
	v_exp_f32_e32 v160, v160                                   // 000000008564: 7F4041A0
	v_sub_f32_e32 v162, v153, v157                             // 000000008568: 05453B99
	v_cmp_eq_u32_e64 s[98:99], v216, v153                      // 00000000856C: D0CA0062 000333D8
	v_cndmask_b32_e64 v162, v162, 0, s[98:99]                  // 000000008574: D10000A2 018901A2
	v_mov_b32_e32 v153, v157                                   // 00000000857C: 7F32039D
	v_mul_f32_e32 v162, s46, v162                              // 000000008580: 0B45442E
	v_exp_f32_e32 v162, v162                                   // 000000008584: 7F4441A2
	v_sub_f32_e32 v164, v154, v158                             // 000000008588: 05493D9A
	v_cmp_eq_u32_e64 s[98:99], v216, v154                      // 00000000858C: D0CA0062 000335D8
	v_cndmask_b32_e64 v164, v164, 0, s[98:99]                  // 000000008594: D10000A4 018901A4
	v_mov_b32_e32 v154, v158                                   // 00000000859C: 7F34039E
	v_mul_f32_e32 v164, s46, v164                              // 0000000085A0: 0B49482E
	v_exp_f32_e32 v164, v164                                   // 0000000085A4: 7F4841A4
	v_sub_f32_e32 v166, v155, v159                             // 0000000085A8: 054D3F9B
	v_cmp_eq_u32_e64 s[98:99], v216, v155                      // 0000000085AC: D0CA0062 000337D8
	v_cndmask_b32_e64 v166, v166, 0, s[98:99]                  // 0000000085B4: D10000A6 018901A6
	v_mov_b32_e32 v155, v159                                   // 0000000085BC: 7F36039F
	v_mul_f32_e32 v166, s46, v166                              // 0000000085C0: 0B4D4C2E
	v_exp_f32_e32 v166, v166                                   // 0000000085C4: 7F4C41A6
	v_mov_b32_e32 v161, v160                                   // 0000000085C8: 7F4203A0
	v_mov_b32_e32 v163, v162                                   // 0000000085CC: 7F4603A2
	v_mov_b32_e32 v165, v164                                   // 0000000085D0: 7F4A03A4
	v_mov_b32_e32 v167, v166                                   // 0000000085D4: 7F4E03A6
	v_mul_f32_e32 v168, v160, v168                             // 0000000085D8: 0B5151A0
	v_mov_b32_e32 v169, 0                                      // 0000000085DC: 7F520280
	v_pk_add_f32 v[168:169], v[4:5], v[168:169]                // 0000000085E0: D3B240A8 18035104
	v_pk_add_f32 v[168:169], v[6:7], v[168:169]                // 0000000085E8: D3B240A8 18035106
	v_pk_add_f32 v[168:169], v[8:9], v[168:169]                // 0000000085F0: D3B240A8 18035108
	v_pk_add_f32 v[168:169], v[10:11], v[168:169]              // 0000000085F8: D3B240A8 1803510A
	v_pk_add_f32 v[168:169], v[12:13], v[168:169]              // 000000008600: D3B240A8 1803510C
	v_pk_add_f32 v[168:169], v[14:15], v[168:169]              // 000000008608: D3B240A8 1803510E
	v_pk_add_f32 v[168:169], v[16:17], v[168:169]              // 000000008610: D3B240A8 18035110
	v_pk_add_f32 v[168:169], v[18:19], v[168:169]              // 000000008618: D3B240A8 18035112
	v_add_f32_e32 v168, v169, v168                             // 000000008620: 035151A9
	v_mul_f32_e32 v170, v162, v170                             // 000000008624: 0B5555A2
	v_mov_b32_e32 v171, 0                                      // 000000008628: 7F560280
	v_pk_add_f32 v[170:171], v[20:21], v[170:171]              // 00000000862C: D3B240AA 18035514
	v_pk_add_f32 v[170:171], v[22:23], v[170:171]              // 000000008634: D3B240AA 18035516
	v_pk_add_f32 v[170:171], v[24:25], v[170:171]              // 00000000863C: D3B240AA 18035518
	v_pk_add_f32 v[170:171], v[26:27], v[170:171]              // 000000008644: D3B240AA 1803551A
	v_pk_add_f32 v[170:171], v[28:29], v[170:171]              // 00000000864C: D3B240AA 1803551C
	v_pk_add_f32 v[170:171], v[30:31], v[170:171]              // 000000008654: D3B240AA 1803551E
	v_pk_add_f32 v[170:171], v[32:33], v[170:171]              // 00000000865C: D3B240AA 18035520
	v_pk_add_f32 v[170:171], v[34:35], v[170:171]              // 000000008664: D3B240AA 18035522
	v_add_f32_e32 v170, v171, v170                             // 00000000866C: 035555AB
	v_mul_f32_e32 v172, v164, v172                             // 000000008670: 0B5959A4
	v_mov_b32_e32 v173, 0                                      // 000000008674: 7F5A0280
	v_pk_add_f32 v[172:173], v[36:37], v[172:173]              // 000000008678: D3B240AC 18035924
	v_pk_add_f32 v[172:173], v[38:39], v[172:173]              // 000000008680: D3B240AC 18035926
	;; [unrolled: 1-line block ×3, first 2 shown]
	v_pk_add_f32 v[172:173], v[42:43], v[172:173]              // 000000008690: D3B240AC 1803592A
	v_pk_add_f32 v[172:173], v[44:45], v[172:173]              // 000000008698: D3B240AC 1803592C
	v_pk_add_f32 v[172:173], v[46:47], v[172:173]              // 0000000086A0: D3B240AC 1803592E
	v_pk_add_f32 v[172:173], v[48:49], v[172:173]              // 0000000086A8: D3B240AC 18035930
	v_pk_add_f32 v[172:173], v[50:51], v[172:173]              // 0000000086B0: D3B240AC 18035932
	v_add_f32_e32 v172, v173, v172                             // 0000000086B8: 035959AD
	v_mul_f32_e32 v174, v166, v174                             // 0000000086BC: 0B5D5DA6
	v_mov_b32_e32 v175, 0                                      // 0000000086C0: 7F5E0280
	v_pk_add_f32 v[174:175], v[52:53], v[174:175]              // 0000000086C4: D3B240AE 18035D34
	v_pk_add_f32 v[174:175], v[54:55], v[174:175]              // 0000000086CC: D3B240AE 18035D36
	v_pk_add_f32 v[174:175], v[56:57], v[174:175]              // 0000000086D4: D3B240AE 18035D38
	v_pk_add_f32 v[174:175], v[58:59], v[174:175]              // 0000000086DC: D3B240AE 18035D3A
	v_pk_add_f32 v[174:175], v[60:61], v[174:175]              // 0000000086E4: D3B240AE 18035D3C
	v_pk_add_f32 v[174:175], v[62:63], v[174:175]              // 0000000086EC: D3B240AE 18035D3E
	v_pk_add_f32 v[174:175], v[64:65], v[174:175]              // 0000000086F4: D3B240AE 18035D40
	v_pk_add_f32 v[174:175], v[66:67], v[174:175]              // 0000000086FC: D3B240AE 18035D42
	v_add_f32_e32 v174, v175, v174                             // 000000008704: 035D5DAF
	v_mul_f32_dpp v4, v143, v4 row_newbcast:0 row_mask:0xf bank_mask:0xf// 000000008708: 0A0808FA FF01508F
	v_mul_f32_dpp v5, v143, v5 row_newbcast:1 row_mask:0xf bank_mask:0xf// 000000008710: 0A0A0AFA FF01518F
	v_mul_f32_dpp v6, v143, v6 row_newbcast:2 row_mask:0xf bank_mask:0xf// 000000008718: 0A0C0CFA FF01528F
	v_mul_f32_dpp v7, v143, v7 row_newbcast:3 row_mask:0xf bank_mask:0xf// 000000008720: 0A0E0EFA FF01538F
	v_mul_f32_dpp v8, v143, v8 row_newbcast:4 row_mask:0xf bank_mask:0xf// 000000008728: 0A1010FA FF01548F
	v_mul_f32_dpp v9, v143, v9 row_newbcast:5 row_mask:0xf bank_mask:0xf// 000000008730: 0A1212FA FF01558F
	v_mul_f32_dpp v10, v143, v10 row_newbcast:6 row_mask:0xf bank_mask:0xf// 000000008738: 0A1414FA FF01568F
	v_mul_f32_dpp v11, v143, v11 row_newbcast:7 row_mask:0xf bank_mask:0xf// 000000008740: 0A1616FA FF01578F
	v_mul_f32_dpp v12, v143, v12 row_newbcast:8 row_mask:0xf bank_mask:0xf// 000000008748: 0A1818FA FF01588F
	v_mul_f32_dpp v13, v143, v13 row_newbcast:9 row_mask:0xf bank_mask:0xf// 000000008750: 0A1A1AFA FF01598F
	v_mul_f32_dpp v14, v143, v14 row_newbcast:10 row_mask:0xf bank_mask:0xf// 000000008758: 0A1C1CFA FF015A8F
	v_mul_f32_dpp v15, v143, v15 row_newbcast:11 row_mask:0xf bank_mask:0xf// 000000008760: 0A1E1EFA FF015B8F
	v_mul_f32_dpp v16, v143, v16 row_newbcast:12 row_mask:0xf bank_mask:0xf// 000000008768: 0A2020FA FF015C8F
	v_mul_f32_dpp v17, v143, v17 row_newbcast:13 row_mask:0xf bank_mask:0xf// 000000008770: 0A2222FA FF015D8F
	v_mul_f32_dpp v18, v143, v18 row_newbcast:14 row_mask:0xf bank_mask:0xf// 000000008778: 0A2424FA FF015E8F
	v_mul_f32_dpp v19, v143, v19 row_newbcast:15 row_mask:0xf bank_mask:0xf// 000000008780: 0A2626FA FF015F8F
	v_mul_f32_dpp v20, v143, v20 row_newbcast:0 row_mask:0xf bank_mask:0xf// 000000008788: 0A2828FA FF01508F
	v_mul_f32_dpp v21, v143, v21 row_newbcast:1 row_mask:0xf bank_mask:0xf// 000000008790: 0A2A2AFA FF01518F
	v_mul_f32_dpp v22, v143, v22 row_newbcast:2 row_mask:0xf bank_mask:0xf// 000000008798: 0A2C2CFA FF01528F
	v_mul_f32_dpp v23, v143, v23 row_newbcast:3 row_mask:0xf bank_mask:0xf// 0000000087A0: 0A2E2EFA FF01538F
	v_mul_f32_dpp v24, v143, v24 row_newbcast:4 row_mask:0xf bank_mask:0xf// 0000000087A8: 0A3030FA FF01548F
	v_mul_f32_dpp v25, v143, v25 row_newbcast:5 row_mask:0xf bank_mask:0xf// 0000000087B0: 0A3232FA FF01558F
	v_mul_f32_dpp v26, v143, v26 row_newbcast:6 row_mask:0xf bank_mask:0xf// 0000000087B8: 0A3434FA FF01568F
	v_mul_f32_dpp v27, v143, v27 row_newbcast:7 row_mask:0xf bank_mask:0xf// 0000000087C0: 0A3636FA FF01578F
	v_mul_f32_dpp v28, v143, v28 row_newbcast:8 row_mask:0xf bank_mask:0xf// 0000000087C8: 0A3838FA FF01588F
	v_mul_f32_dpp v29, v143, v29 row_newbcast:9 row_mask:0xf bank_mask:0xf// 0000000087D0: 0A3A3AFA FF01598F
	v_mul_f32_dpp v30, v143, v30 row_newbcast:10 row_mask:0xf bank_mask:0xf// 0000000087D8: 0A3C3CFA FF015A8F
	v_mul_f32_dpp v31, v143, v31 row_newbcast:11 row_mask:0xf bank_mask:0xf// 0000000087E0: 0A3E3EFA FF015B8F
	v_mul_f32_dpp v32, v143, v32 row_newbcast:12 row_mask:0xf bank_mask:0xf// 0000000087E8: 0A4040FA FF015C8F
	v_mul_f32_dpp v33, v143, v33 row_newbcast:13 row_mask:0xf bank_mask:0xf// 0000000087F0: 0A4242FA FF015D8F
	v_mul_f32_dpp v34, v143, v34 row_newbcast:14 row_mask:0xf bank_mask:0xf// 0000000087F8: 0A4444FA FF015E8F
	v_mul_f32_dpp v35, v143, v35 row_newbcast:15 row_mask:0xf bank_mask:0xf// 000000008800: 0A4646FA FF015F8F
	v_mul_f32_dpp v36, v143, v36 row_newbcast:0 row_mask:0xf bank_mask:0xf// 000000008808: 0A4848FA FF01508F
	v_mul_f32_dpp v37, v143, v37 row_newbcast:1 row_mask:0xf bank_mask:0xf// 000000008810: 0A4A4AFA FF01518F
	v_mul_f32_dpp v38, v143, v38 row_newbcast:2 row_mask:0xf bank_mask:0xf// 000000008818: 0A4C4CFA FF01528F
	v_mul_f32_dpp v39, v143, v39 row_newbcast:3 row_mask:0xf bank_mask:0xf// 000000008820: 0A4E4EFA FF01538F
	v_mul_f32_dpp v40, v143, v40 row_newbcast:4 row_mask:0xf bank_mask:0xf// 000000008828: 0A5050FA FF01548F
	v_mul_f32_dpp v41, v143, v41 row_newbcast:5 row_mask:0xf bank_mask:0xf// 000000008830: 0A5252FA FF01558F
	v_mul_f32_dpp v42, v143, v42 row_newbcast:6 row_mask:0xf bank_mask:0xf// 000000008838: 0A5454FA FF01568F
	v_mul_f32_dpp v43, v143, v43 row_newbcast:7 row_mask:0xf bank_mask:0xf// 000000008840: 0A5656FA FF01578F
	v_mul_f32_dpp v44, v143, v44 row_newbcast:8 row_mask:0xf bank_mask:0xf// 000000008848: 0A5858FA FF01588F
	v_mul_f32_dpp v45, v143, v45 row_newbcast:9 row_mask:0xf bank_mask:0xf// 000000008850: 0A5A5AFA FF01598F
	v_mul_f32_dpp v46, v143, v46 row_newbcast:10 row_mask:0xf bank_mask:0xf// 000000008858: 0A5C5CFA FF015A8F
	v_mul_f32_dpp v47, v143, v47 row_newbcast:11 row_mask:0xf bank_mask:0xf// 000000008860: 0A5E5EFA FF015B8F
	v_mul_f32_dpp v48, v143, v48 row_newbcast:12 row_mask:0xf bank_mask:0xf// 000000008868: 0A6060FA FF015C8F
	v_mul_f32_dpp v49, v143, v49 row_newbcast:13 row_mask:0xf bank_mask:0xf// 000000008870: 0A6262FA FF015D8F
	v_mul_f32_dpp v50, v143, v50 row_newbcast:14 row_mask:0xf bank_mask:0xf// 000000008878: 0A6464FA FF015E8F
	v_mul_f32_dpp v51, v143, v51 row_newbcast:15 row_mask:0xf bank_mask:0xf// 000000008880: 0A6666FA FF015F8F
	v_mul_f32_dpp v52, v143, v52 row_newbcast:0 row_mask:0xf bank_mask:0xf// 000000008888: 0A6868FA FF01508F
	v_mul_f32_dpp v53, v143, v53 row_newbcast:1 row_mask:0xf bank_mask:0xf// 000000008890: 0A6A6AFA FF01518F
	v_mul_f32_dpp v54, v143, v54 row_newbcast:2 row_mask:0xf bank_mask:0xf// 000000008898: 0A6C6CFA FF01528F
	v_mul_f32_dpp v55, v143, v55 row_newbcast:3 row_mask:0xf bank_mask:0xf// 0000000088A0: 0A6E6EFA FF01538F
	v_mul_f32_dpp v56, v143, v56 row_newbcast:4 row_mask:0xf bank_mask:0xf// 0000000088A8: 0A7070FA FF01548F
	v_mul_f32_dpp v57, v143, v57 row_newbcast:5 row_mask:0xf bank_mask:0xf// 0000000088B0: 0A7272FA FF01558F
	v_mul_f32_dpp v58, v143, v58 row_newbcast:6 row_mask:0xf bank_mask:0xf// 0000000088B8: 0A7474FA FF01568F
	v_mul_f32_dpp v59, v143, v59 row_newbcast:7 row_mask:0xf bank_mask:0xf// 0000000088C0: 0A7676FA FF01578F
	v_mul_f32_dpp v60, v143, v60 row_newbcast:8 row_mask:0xf bank_mask:0xf// 0000000088C8: 0A7878FA FF01588F
	v_mul_f32_dpp v61, v143, v61 row_newbcast:9 row_mask:0xf bank_mask:0xf// 0000000088D0: 0A7A7AFA FF01598F
	v_mul_f32_dpp v62, v143, v62 row_newbcast:10 row_mask:0xf bank_mask:0xf// 0000000088D8: 0A7C7CFA FF015A8F
	v_mul_f32_dpp v63, v143, v63 row_newbcast:11 row_mask:0xf bank_mask:0xf// 0000000088E0: 0A7E7EFA FF015B8F
	v_mul_f32_dpp v64, v143, v64 row_newbcast:12 row_mask:0xf bank_mask:0xf// 0000000088E8: 0A8080FA FF015C8F
	v_mul_f32_dpp v65, v143, v65 row_newbcast:13 row_mask:0xf bank_mask:0xf// 0000000088F0: 0A8282FA FF015D8F
	v_mul_f32_dpp v66, v143, v66 row_newbcast:14 row_mask:0xf bank_mask:0xf// 0000000088F8: 0A8484FA FF015E8F
	v_mul_f32_dpp v67, v143, v67 row_newbcast:15 row_mask:0xf bank_mask:0xf// 000000008900: 0A8686FA FF015F8F
	buffer_load_dword v140, v231, s[20:23], 0 offen            // 000000008908: E0501000 80058CE7
	s_waitcnt lgkmcnt(0)                                       // 000000008910: BF8CC07F
	s_barrier                                                  // 000000008914: BF8A0000
	buffer_load_dword v142, v232, s[24:27], 0 offen            // 000000008918: E0501000 80068EE8
	s_waitcnt lgkmcnt(0)                                       // 000000008920: BF8CC07F
	v_sub_f32_e32 v176, v176, v152                             // 000000008924: 056131B0
	v_sub_f32_e32 v177, v177, v153                             // 000000008928: 056333B1
	v_sub_f32_e32 v178, v178, v154                             // 00000000892C: 056535B2
	v_sub_f32_e32 v179, v179, v155                             // 000000008930: 056737B3
	v_mul_f32_e32 v176, s46, v176                              // 000000008934: 0B61602E
	v_mul_f32_e32 v177, s46, v177                              // 000000008938: 0B63622E
	v_mul_f32_e32 v178, s46, v178                              // 00000000893C: 0B65642E
	v_mul_f32_e32 v179, s46, v179                              // 000000008940: 0B67662E
	v_exp_f32_e32 v176, v176                                   // 000000008944: 7F6041B0
	v_exp_f32_e32 v177, v177                                   // 000000008948: 7F6241B1
	v_exp_f32_e32 v178, v178                                   // 00000000894C: 7F6441B2
	v_exp_f32_e32 v179, v179                                   // 000000008950: 7F6641B3
	v_mul_f32_e32 v176, v143, v176                             // 000000008954: 0B61618F
	v_mul_f32_e32 v177, v143, v177                             // 000000008958: 0B63638F
	v_mul_f32_e32 v178, v143, v178                             // 00000000895C: 0B65658F
	v_mul_f32_e32 v179, v143, v179                             // 000000008960: 0B67678F
	v_add_f32_e32 v176, 0x3089705f, v176                       // 000000008964: 036160FF 3089705F
	v_add_f32_e32 v177, 0x3089705f, v177                       // 00000000896C: 036362FF 3089705F
	v_add_f32_e32 v178, 0x3089705f, v178                       // 000000008974: 036564FF 3089705F
	v_add_f32_e32 v179, 0x3089705f, v179                       // 00000000897C: 036766FF 3089705F
	v_rcp_f32_e32 v176, v176                                   // 000000008984: 7F6045B0
	v_rcp_f32_e32 v177, v177                                   // 000000008988: 7F6245B1
	v_rcp_f32_e32 v178, v178                                   // 00000000898C: 7F6445B2
	v_rcp_f32_e32 v179, v179                                   // 000000008990: 7F6645B3
	v_mul_f32_e32 v176, 0x43700000, v176                       // 000000008994: 0B6160FF 43700000
	v_mul_f32_e32 v177, 0x43700000, v177                       // 00000000899C: 0B6362FF 43700000
	v_mul_f32_e32 v178, 0x43700000, v178                       // 0000000089A4: 0B6564FF 43700000
	v_mul_f32_e32 v179, 0x43700000, v179                       // 0000000089AC: 0B6766FF 43700000
	v_mul_f32_e32 v4, v176, v4                                 // 0000000089B4: 0A0809B0
	v_mul_f32_e32 v5, v176, v5                                 // 0000000089B8: 0A0A0BB0
	v_mul_f32_e32 v6, v176, v6                                 // 0000000089BC: 0A0C0DB0
	v_mul_f32_e32 v7, v176, v7                                 // 0000000089C0: 0A0E0FB0
	v_mul_f32_e32 v8, v176, v8                                 // 0000000089C4: 0A1011B0
	v_mul_f32_e32 v9, v176, v9                                 // 0000000089C8: 0A1213B0
	v_mul_f32_e32 v10, v176, v10                               // 0000000089CC: 0A1415B0
	v_mul_f32_e32 v11, v176, v11                               // 0000000089D0: 0A1617B0
	v_mul_f32_e32 v12, v176, v12                               // 0000000089D4: 0A1819B0
	v_mul_f32_e32 v13, v176, v13                               // 0000000089D8: 0A1A1BB0
	v_mul_f32_e32 v14, v176, v14                               // 0000000089DC: 0A1C1DB0
	v_mul_f32_e32 v15, v176, v15                               // 0000000089E0: 0A1E1FB0
	v_mul_f32_e32 v16, v176, v16                               // 0000000089E4: 0A2021B0
	v_mul_f32_e32 v17, v176, v17                               // 0000000089E8: 0A2223B0
	v_mul_f32_e32 v18, v176, v18                               // 0000000089EC: 0A2425B0
	v_mul_f32_e32 v19, v176, v19                               // 0000000089F0: 0A2627B0
	v_mul_f32_e32 v20, v177, v20                               // 0000000089F4: 0A2829B1
	v_mul_f32_e32 v21, v177, v21                               // 0000000089F8: 0A2A2BB1
	v_mul_f32_e32 v22, v177, v22                               // 0000000089FC: 0A2C2DB1
	v_mul_f32_e32 v23, v177, v23                               // 000000008A00: 0A2E2FB1
	v_mul_f32_e32 v24, v177, v24                               // 000000008A04: 0A3031B1
	v_mul_f32_e32 v25, v177, v25                               // 000000008A08: 0A3233B1
	v_mul_f32_e32 v26, v177, v26                               // 000000008A0C: 0A3435B1
	v_mul_f32_e32 v27, v177, v27                               // 000000008A10: 0A3637B1
	v_mul_f32_e32 v28, v177, v28                               // 000000008A14: 0A3839B1
	v_mul_f32_e32 v29, v177, v29                               // 000000008A18: 0A3A3BB1
	v_mul_f32_e32 v30, v177, v30                               // 000000008A1C: 0A3C3DB1
	v_mul_f32_e32 v31, v177, v31                               // 000000008A20: 0A3E3FB1
	v_mul_f32_e32 v32, v177, v32                               // 000000008A24: 0A4041B1
	v_mul_f32_e32 v33, v177, v33                               // 000000008A28: 0A4243B1
	v_mul_f32_e32 v34, v177, v34                               // 000000008A2C: 0A4445B1
	v_mul_f32_e32 v35, v177, v35                               // 000000008A30: 0A4647B1
	v_mul_f32_e32 v36, v178, v36                               // 000000008A34: 0A4849B2
	v_mul_f32_e32 v37, v178, v37                               // 000000008A38: 0A4A4BB2
	v_mul_f32_e32 v38, v178, v38                               // 000000008A3C: 0A4C4DB2
	v_mul_f32_e32 v39, v178, v39                               // 000000008A40: 0A4E4FB2
	v_mul_f32_e32 v40, v178, v40                               // 000000008A44: 0A5051B2
	v_mul_f32_e32 v41, v178, v41                               // 000000008A48: 0A5253B2
	v_mul_f32_e32 v42, v178, v42                               // 000000008A4C: 0A5455B2
	v_mul_f32_e32 v43, v178, v43                               // 000000008A50: 0A5657B2
	v_mul_f32_e32 v44, v178, v44                               // 000000008A54: 0A5859B2
	v_mul_f32_e32 v45, v178, v45                               // 000000008A58: 0A5A5BB2
	v_mul_f32_e32 v46, v178, v46                               // 000000008A5C: 0A5C5DB2
	v_mul_f32_e32 v47, v178, v47                               // 000000008A60: 0A5E5FB2
	v_mul_f32_e32 v48, v178, v48                               // 000000008A64: 0A6061B2
	v_mul_f32_e32 v49, v178, v49                               // 000000008A68: 0A6263B2
	v_mul_f32_e32 v50, v178, v50                               // 000000008A6C: 0A6465B2
	v_mul_f32_e32 v51, v178, v51                               // 000000008A70: 0A6667B2
	v_mul_f32_e32 v52, v179, v52                               // 000000008A74: 0A6869B3
	v_mul_f32_e32 v53, v179, v53                               // 000000008A78: 0A6A6BB3
	v_mul_f32_e32 v54, v179, v54                               // 000000008A7C: 0A6C6DB3
	v_mul_f32_e32 v55, v179, v55                               // 000000008A80: 0A6E6FB3
	v_mul_f32_e32 v56, v179, v56                               // 000000008A84: 0A7071B3
	v_mul_f32_e32 v57, v179, v57                               // 000000008A88: 0A7273B3
	v_mul_f32_e32 v58, v179, v58                               // 000000008A8C: 0A7475B3
	v_mul_f32_e32 v59, v179, v59                               // 000000008A90: 0A7677B3
	v_mul_f32_e32 v60, v179, v60                               // 000000008A94: 0A7879B3
	v_mul_f32_e32 v61, v179, v61                               // 000000008A98: 0A7A7BB3
	v_mul_f32_e32 v62, v179, v62                               // 000000008A9C: 0A7C7DB3
	v_mul_f32_e32 v63, v179, v63                               // 000000008AA0: 0A7E7FB3
	v_mul_f32_e32 v64, v179, v64                               // 000000008AA4: 0A8081B3
	v_mul_f32_e32 v65, v179, v65                               // 000000008AA8: 0A8283B3
	v_mul_f32_e32 v66, v179, v66                               // 000000008AAC: 0A8485B3
	v_mul_f32_e32 v67, v179, v67                               // 000000008AB0: 0A8687B3
	v_cvt_pk_fp8_f32 v4, v4, v5                                // 000000008AB4: D2A20004 00020B04
	v_cvt_pk_fp8_f32 v4, v6, v7 op_sel:[0,0,1]                 // 000000008ABC: D2A24004 00020F06
	v_cvt_pk_fp8_f32 v5, v8, v9                                // 000000008AC4: D2A20005 00021308
	v_cvt_pk_fp8_f32 v5, v10, v11 op_sel:[0,0,1]               // 000000008ACC: D2A24005 0002170A
	v_cvt_pk_fp8_f32 v6, v12, v13                              // 000000008AD4: D2A20006 00021B0C
	v_cvt_pk_fp8_f32 v6, v14, v15 op_sel:[0,0,1]               // 000000008ADC: D2A24006 00021F0E
	v_cvt_pk_fp8_f32 v7, v16, v17                              // 000000008AE4: D2A20007 00022310
	v_cvt_pk_fp8_f32 v7, v18, v19 op_sel:[0,0,1]               // 000000008AEC: D2A24007 00022712
	v_cvt_pk_fp8_f32 v8, v20, v21                              // 000000008AF4: D2A20008 00022B14
	v_cvt_pk_fp8_f32 v8, v22, v23 op_sel:[0,0,1]               // 000000008AFC: D2A24008 00022F16
	v_cvt_pk_fp8_f32 v9, v24, v25                              // 000000008B04: D2A20009 00023318
	v_cvt_pk_fp8_f32 v9, v26, v27 op_sel:[0,0,1]               // 000000008B0C: D2A24009 0002371A
	v_cvt_pk_fp8_f32 v10, v28, v29                             // 000000008B14: D2A2000A 00023B1C
	v_cvt_pk_fp8_f32 v10, v30, v31 op_sel:[0,0,1]              // 000000008B1C: D2A2400A 00023F1E
	v_cvt_pk_fp8_f32 v11, v32, v33                             // 000000008B24: D2A2000B 00024320
	v_cvt_pk_fp8_f32 v11, v34, v35 op_sel:[0,0,1]              // 000000008B2C: D2A2400B 00024722
	v_cvt_pk_fp8_f32 v12, v36, v37                             // 000000008B34: D2A2000C 00024B24
	v_cvt_pk_fp8_f32 v12, v38, v39 op_sel:[0,0,1]              // 000000008B3C: D2A2400C 00024F26
	v_cvt_pk_fp8_f32 v13, v40, v41                             // 000000008B44: D2A2000D 00025328
	v_cvt_pk_fp8_f32 v13, v42, v43 op_sel:[0,0,1]              // 000000008B4C: D2A2400D 0002572A
	v_cvt_pk_fp8_f32 v14, v44, v45                             // 000000008B54: D2A2000E 00025B2C
	v_cvt_pk_fp8_f32 v14, v46, v47 op_sel:[0,0,1]              // 000000008B5C: D2A2400E 00025F2E
	v_cvt_pk_fp8_f32 v15, v48, v49                             // 000000008B64: D2A2000F 00026330
	v_cvt_pk_fp8_f32 v15, v50, v51 op_sel:[0,0,1]              // 000000008B6C: D2A2400F 00026732
	v_cvt_pk_fp8_f32 v16, v52, v53                             // 000000008B74: D2A20010 00026B34
	v_cvt_pk_fp8_f32 v16, v54, v55 op_sel:[0,0,1]              // 000000008B7C: D2A24010 00026F36
	v_cvt_pk_fp8_f32 v17, v56, v57                             // 000000008B84: D2A20011 00027338
	v_cvt_pk_fp8_f32 v17, v58, v59 op_sel:[0,0,1]              // 000000008B8C: D2A24011 0002773A
	v_cvt_pk_fp8_f32 v18, v60, v61                             // 000000008B94: D2A20012 00027B3C
	v_cvt_pk_fp8_f32 v18, v62, v63 op_sel:[0,0,1]              // 000000008B9C: D2A24012 00027F3E
	v_cvt_pk_fp8_f32 v19, v64, v65                             // 000000008BA4: D2A20013 00028340
	v_cvt_pk_fp8_f32 v19, v66, v67 op_sel:[0,0,1]              // 000000008BAC: D2A24013 00028742
	ds_write_b32 v249, v4 offset:8192                          // 000000008BB4: D81A2000 000004F9
	ds_write_b32 v249, v5 offset:9216                          // 000000008BBC: D81A2400 000005F9
	ds_write_b32 v249, v6 offset:10240                         // 000000008BC4: D81A2800 000006F9
	ds_write_b32 v249, v7 offset:11264                         // 000000008BCC: D81A2C00 000007F9
	ds_write_b32 v249, v8 offset:12288                         // 000000008BD4: D81A3000 000008F9
	ds_write_b32 v249, v9 offset:13312                         // 000000008BDC: D81A3400 000009F9
	ds_write_b32 v249, v10 offset:14336                        // 000000008BE4: D81A3800 00000AF9
	ds_write_b32 v249, v11 offset:15360                        // 000000008BEC: D81A3C00 00000BF9
	ds_write_b32 v249, v12 offset:16384                        // 000000008BF4: D81A4000 00000CF9
	ds_write_b32 v249, v13 offset:17408                        // 000000008BFC: D81A4400 00000DF9
	ds_write_b32 v249, v14 offset:18432                        // 000000008C04: D81A4800 00000EF9
	ds_write_b32 v249, v15 offset:19456                        // 000000008C0C: D81A4C00 00000FF9
	ds_write_b32 v249, v16 offset:20480                        // 000000008C14: D81A5000 000010F9
	ds_write_b32 v249, v17 offset:21504                        // 000000008C1C: D81A5400 000011F9
	ds_write_b32 v249, v18 offset:22528                        // 000000008C24: D81A5800 000012F9
	ds_write_b32 v249, v19 offset:23552                        // 000000008C2C: D81A5C00 000013F9
	v_rcp_f32_e32 v144, v176                                   // 000000008C34: 7F2045B0
	v_rcp_f32_e32 v146, v177                                   // 000000008C38: 7F2445B1
	v_rcp_f32_e32 v148, v178                                   // 000000008C3C: 7F2845B2
	v_rcp_f32_e32 v150, v179                                   // 000000008C40: 7F2C45B3
	v_mov_b32_e32 v145, v144                                   // 000000008C44: 7F220390
	v_mov_b32_e32 v147, v146                                   // 000000008C48: 7F260392
	v_mov_b32_e32 v149, v148                                   // 000000008C4C: 7F2A0394
	v_mov_b32_e32 v151, v150                                   // 000000008C50: 7F2E0396
	v_pk_add_f32 v[100:101], v[100:101], v[68:69]              // 000000008C54: D3B24064 18028964
	v_pk_add_f32 v[102:103], v[102:103], v[70:71]              // 000000008C5C: D3B24066 18028D66
	v_pk_add_f32 v[104:105], v[104:105], v[72:73]              // 000000008C64: D3B24068 18029168
	v_pk_add_f32 v[106:107], v[106:107], v[74:75]              // 000000008C6C: D3B2406A 1802956A
	v_pk_add_f32 v[108:109], v[108:109], v[76:77]              // 000000008C74: D3B2406C 1802996C
	v_pk_add_f32 v[110:111], v[110:111], v[78:79]              // 000000008C7C: D3B2406E 18029D6E
	v_pk_add_f32 v[112:113], v[112:113], v[80:81]              // 000000008C84: D3B24070 1802A170
	v_pk_add_f32 v[114:115], v[114:115], v[82:83]              // 000000008C8C: D3B24072 1802A572
	v_pk_add_f32 v[116:117], v[116:117], v[84:85]              // 000000008C94: D3B24074 1802A974
	v_pk_add_f32 v[118:119], v[118:119], v[86:87]              // 000000008C9C: D3B24076 1802AD76
	v_pk_add_f32 v[120:121], v[120:121], v[88:89]              // 000000008CA4: D3B24078 1802B178
	v_pk_add_f32 v[122:123], v[122:123], v[90:91]              // 000000008CAC: D3B2407A 1802B57A
	v_pk_add_f32 v[124:125], v[124:125], v[92:93]              // 000000008CB4: D3B2407C 1802B97C
	v_pk_add_f32 v[126:127], v[126:127], v[94:95]              // 000000008CBC: D3B2407E 1802BD7E
	v_pk_add_f32 v[128:129], v[128:129], v[96:97]              // 000000008CC4: D3B24080 1802C180
	v_pk_add_f32 v[130:131], v[130:131], v[98:99]              // 000000008CCC: D3B24082 1802C582
	s_waitcnt lgkmcnt(0)                                       // 000000008CD4: BF8CC07F
	s_barrier                                                  // 000000008CD8: BF8A0000
	ds_read_b128 v[4:7], v250 offset:8192                      // 000000008CDC: D9FE2000 040000FA
	ds_read_b128 v[8:11], v250 offset:9216                     // 000000008CE4: D9FE2400 080000FA
	ds_read_b128 v[12:15], v250 offset:10240                   // 000000008CEC: D9FE2800 0C0000FA
	ds_read_b128 v[16:19], v250 offset:11264                   // 000000008CF4: D9FE2C00 100000FA
	ds_read_b128 v[20:23], v250 offset:12288                   // 000000008CFC: D9FE3000 140000FA
	ds_read_b128 v[24:27], v250 offset:13312                   // 000000008D04: D9FE3400 180000FA
	ds_read_b128 v[28:31], v250 offset:14336                   // 000000008D0C: D9FE3800 1C0000FA
	ds_read_b128 v[32:35], v250 offset:15360                   // 000000008D14: D9FE3C00 200000FA
	ds_read_b128 v[36:39], v250 offset:16384                   // 000000008D1C: D9FE4000 240000FA
	ds_read_b128 v[40:43], v250 offset:17408                   // 000000008D24: D9FE4400 280000FA
	ds_read_b128 v[44:47], v250 offset:18432                   // 000000008D2C: D9FE4800 2C0000FA
	ds_read_b128 v[48:51], v250 offset:19456                   // 000000008D34: D9FE4C00 300000FA
	ds_read_b128 v[52:55], v250 offset:20480                   // 000000008D3C: D9FE5000 340000FA
	ds_read_b128 v[56:59], v250 offset:21504                   // 000000008D44: D9FE5400 380000FA
	ds_read_b128 v[60:63], v250 offset:22528                   // 000000008D4C: D9FE5800 3C0000FA
	ds_read_b128 v[64:67], v250 offset:23552                   // 000000008D54: D9FE5C00 400000FA
	s_waitcnt vmcnt(10)                                        // 000000008D5C: BF8C0F7A
	s_waitcnt vmcnt(63) expcnt(7) lgkmcnt(15)                  // 000000008D60: BF8CCF7F
	v_mfma_f32_16x16x32_fp8_fp8 v[68:71], a[128:129], v[4:5], 0// 000000008D64: D3F30044 0A020980
	v_mfma_f32_16x16x32_fp8_fp8 v[72:75], a[144:145], v[4:5], 0// 000000008D6C: D3F30048 0A020990
	v_mfma_f32_16x16x32_fp8_fp8 v[68:71], a[130:131], v[6:7], v[68:71]// 000000008D74: D3F30044 0D120D82
	buffer_load_dwordx4 a[96:99], v227, s[16:19], 0 offen      // 000000008D7C: E05C1000 808460E3
	v_mfma_f32_16x16x32_fp8_fp8 v[72:75], a[146:147], v[6:7], v[72:75]// 000000008D84: D3F30048 0D220D92
	s_waitcnt lgkmcnt(14)                                      // 000000008D8C: BF8CCE7F
	v_mfma_f32_16x16x32_fp8_fp8 v[68:71], a[132:133], v[8:9], v[68:71]// 000000008D90: D3F30044 0D121184
	v_mfma_f32_16x16x32_fp8_fp8 v[72:75], a[148:149], v[8:9], v[72:75]// 000000008D98: D3F30048 0D221194
	v_mfma_f32_16x16x32_fp8_fp8 v[68:71], a[134:135], v[10:11], v[68:71]// 000000008DA0: D3F30044 0D121586
	buffer_load_dwordx4 a[100:103], v228, s[16:19], 0 offen    // 000000008DA8: E05C1000 808464E4
	v_mfma_f32_16x16x32_fp8_fp8 v[72:75], a[150:151], v[10:11], v[72:75]// 000000008DB0: D3F30048 0D221596
	s_waitcnt lgkmcnt(13)                                      // 000000008DB8: BF8CCD7F
	v_mfma_f32_16x16x32_fp8_fp8 v[68:71], a[136:137], v[12:13], v[68:71]// 000000008DBC: D3F30044 0D121988
	v_mfma_f32_16x16x32_fp8_fp8 v[72:75], a[152:153], v[12:13], v[72:75]// 000000008DC4: D3F30048 0D221998
	v_mfma_f32_16x16x32_fp8_fp8 v[68:71], a[138:139], v[14:15], v[68:71]// 000000008DCC: D3F30044 0D121D8A
	buffer_load_dwordx4 a[104:107], v229, s[16:19], 0 offen    // 000000008DD4: E05C1000 808468E5
	v_mfma_f32_16x16x32_fp8_fp8 v[72:75], a[154:155], v[14:15], v[72:75]// 000000008DDC: D3F30048 0D221D9A
	s_waitcnt lgkmcnt(12)                                      // 000000008DE4: BF8CCC7F
	v_mfma_f32_16x16x32_fp8_fp8 v[68:71], a[140:141], v[16:17], v[68:71]// 000000008DE8: D3F30044 0D12218C
	v_mfma_f32_16x16x32_fp8_fp8 v[72:75], a[156:157], v[16:17], v[72:75]// 000000008DF0: D3F30048 0D22219C
	v_mfma_f32_16x16x32_fp8_fp8 v[68:71], a[142:143], v[18:19], v[68:71]// 000000008DF8: D3F30044 0D12258E
	buffer_load_dwordx4 a[108:111], v230, s[16:19], 0 offen    // 000000008E00: E05C1000 80846CE6
	v_mfma_f32_16x16x32_fp8_fp8 v[72:75], a[158:159], v[18:19], v[72:75]// 000000008E08: D3F30048 0D22259E
	s_waitcnt lgkmcnt(11)                                      // 000000008E10: BF8CCB7F
	v_mfma_f32_16x16x32_fp8_fp8 v[76:79], a[128:129], v[20:21], 0// 000000008E14: D3F3004C 0A022980
	v_mfma_f32_16x16x32_fp8_fp8 v[80:83], a[144:145], v[20:21], 0// 000000008E1C: D3F30050 0A022990
	v_mfma_f32_16x16x32_fp8_fp8 v[76:79], a[130:131], v[22:23], v[76:79]// 000000008E24: D3F3004C 0D322D82
	buffer_load_dwordx4 a[112:115], v227, s[16:19], 0 offen offset:1024// 000000008E2C: E05C1400 808470E3
	v_mfma_f32_16x16x32_fp8_fp8 v[80:83], a[146:147], v[22:23], v[80:83]// 000000008E34: D3F30050 0D422D92
	s_waitcnt lgkmcnt(10)                                      // 000000008E3C: BF8CCA7F
	v_mfma_f32_16x16x32_fp8_fp8 v[76:79], a[132:133], v[24:25], v[76:79]// 000000008E40: D3F3004C 0D323184
	v_mfma_f32_16x16x32_fp8_fp8 v[80:83], a[148:149], v[24:25], v[80:83]// 000000008E48: D3F30050 0D423194
	v_mfma_f32_16x16x32_fp8_fp8 v[76:79], a[134:135], v[26:27], v[76:79]// 000000008E50: D3F3004C 0D323586
	buffer_load_dwordx4 a[116:119], v228, s[16:19], 0 offen offset:1024// 000000008E58: E05C1400 808474E4
	v_mfma_f32_16x16x32_fp8_fp8 v[80:83], a[150:151], v[26:27], v[80:83]// 000000008E60: D3F30050 0D423596
	s_waitcnt lgkmcnt(9)                                       // 000000008E68: BF8CC97F
	v_mfma_f32_16x16x32_fp8_fp8 v[76:79], a[136:137], v[28:29], v[76:79]// 000000008E6C: D3F3004C 0D323988
	v_mfma_f32_16x16x32_fp8_fp8 v[80:83], a[152:153], v[28:29], v[80:83]// 000000008E74: D3F30050 0D423998
	v_mfma_f32_16x16x32_fp8_fp8 v[76:79], a[138:139], v[30:31], v[76:79]// 000000008E7C: D3F3004C 0D323D8A
	buffer_load_dwordx4 a[120:123], v229, s[16:19], 0 offen offset:1024// 000000008E84: E05C1400 808478E5
	v_mfma_f32_16x16x32_fp8_fp8 v[80:83], a[154:155], v[30:31], v[80:83]// 000000008E8C: D3F30050 0D423D9A
	s_waitcnt lgkmcnt(8)                                       // 000000008E94: BF8CC87F
	v_mfma_f32_16x16x32_fp8_fp8 v[76:79], a[140:141], v[32:33], v[76:79]// 000000008E98: D3F3004C 0D32418C
	v_mfma_f32_16x16x32_fp8_fp8 v[80:83], a[156:157], v[32:33], v[80:83]// 000000008EA0: D3F30050 0D42419C
	v_mfma_f32_16x16x32_fp8_fp8 v[76:79], a[142:143], v[34:35], v[76:79]// 000000008EA8: D3F3004C 0D32458E
	buffer_load_dwordx4 a[124:127], v230, s[16:19], 0 offen offset:1024// 000000008EB0: E05C1400 80847CE6
	v_mfma_f32_16x16x32_fp8_fp8 v[80:83], a[158:159], v[34:35], v[80:83]// 000000008EB8: D3F30050 0D42459E
	s_waitcnt lgkmcnt(7)                                       // 000000008EC0: BF8CC77F
	v_mfma_f32_16x16x32_fp8_fp8 v[84:87], a[128:129], v[36:37], 0// 000000008EC4: D3F30054 0A024980
	v_mfma_f32_16x16x32_fp8_fp8 v[88:91], a[144:145], v[36:37], 0// 000000008ECC: D3F30058 0A024990
	v_mfma_f32_16x16x32_fp8_fp8 v[84:87], a[130:131], v[38:39], v[84:87]// 000000008ED4: D3F30054 0D524D82
	v_mfma_f32_16x16x32_fp8_fp8 v[88:91], a[146:147], v[38:39], v[88:91]// 000000008EDC: D3F30058 0D624D92
	s_waitcnt lgkmcnt(6)                                       // 000000008EE4: BF8CC67F
	v_mfma_f32_16x16x32_fp8_fp8 v[84:87], a[132:133], v[40:41], v[84:87]// 000000008EE8: D3F30054 0D525184
	v_mfma_f32_16x16x32_fp8_fp8 v[88:91], a[148:149], v[40:41], v[88:91]// 000000008EF0: D3F30058 0D625194
	v_mfma_f32_16x16x32_fp8_fp8 v[84:87], a[134:135], v[42:43], v[84:87]// 000000008EF8: D3F30054 0D525586
	v_mfma_f32_16x16x32_fp8_fp8 v[88:91], a[150:151], v[42:43], v[88:91]// 000000008F00: D3F30058 0D625596
	s_waitcnt lgkmcnt(5)                                       // 000000008F08: BF8CC57F
	v_mfma_f32_16x16x32_fp8_fp8 v[84:87], a[136:137], v[44:45], v[84:87]// 000000008F0C: D3F30054 0D525988
	v_mfma_f32_16x16x32_fp8_fp8 v[88:91], a[152:153], v[44:45], v[88:91]// 000000008F14: D3F30058 0D625998
	v_mfma_f32_16x16x32_fp8_fp8 v[84:87], a[138:139], v[46:47], v[84:87]// 000000008F1C: D3F30054 0D525D8A
	v_mfma_f32_16x16x32_fp8_fp8 v[88:91], a[154:155], v[46:47], v[88:91]// 000000008F24: D3F30058 0D625D9A
	s_waitcnt lgkmcnt(4)                                       // 000000008F2C: BF8CC47F
	v_mfma_f32_16x16x32_fp8_fp8 v[84:87], a[140:141], v[48:49], v[84:87]// 000000008F30: D3F30054 0D52618C
	v_mfma_f32_16x16x32_fp8_fp8 v[88:91], a[156:157], v[48:49], v[88:91]// 000000008F38: D3F30058 0D62619C
	v_mfma_f32_16x16x32_fp8_fp8 v[84:87], a[142:143], v[50:51], v[84:87]// 000000008F40: D3F30054 0D52658E
	v_mfma_f32_16x16x32_fp8_fp8 v[88:91], a[158:159], v[50:51], v[88:91]// 000000008F48: D3F30058 0D62659E
	s_waitcnt lgkmcnt(3)                                       // 000000008F50: BF8CC37F
	v_mfma_f32_16x16x32_fp8_fp8 v[92:95], a[128:129], v[52:53], 0// 000000008F54: D3F3005C 0A026980
	v_mfma_f32_16x16x32_fp8_fp8 v[96:99], a[144:145], v[52:53], 0// 000000008F5C: D3F30060 0A026990
	v_mfma_f32_16x16x32_fp8_fp8 v[92:95], a[130:131], v[54:55], v[92:95]// 000000008F64: D3F3005C 0D726D82
	v_mfma_f32_16x16x32_fp8_fp8 v[96:99], a[146:147], v[54:55], v[96:99]// 000000008F6C: D3F30060 0D826D92
	s_waitcnt lgkmcnt(2)                                       // 000000008F74: BF8CC27F
	v_mfma_f32_16x16x32_fp8_fp8 v[92:95], a[132:133], v[56:57], v[92:95]// 000000008F78: D3F3005C 0D727184
	v_mfma_f32_16x16x32_fp8_fp8 v[96:99], a[148:149], v[56:57], v[96:99]// 000000008F80: D3F30060 0D827194
	v_mfma_f32_16x16x32_fp8_fp8 v[92:95], a[134:135], v[58:59], v[92:95]// 000000008F88: D3F3005C 0D727586
	v_mfma_f32_16x16x32_fp8_fp8 v[96:99], a[150:151], v[58:59], v[96:99]// 000000008F90: D3F30060 0D827596
	s_waitcnt lgkmcnt(1)                                       // 000000008F98: BF8CC17F
	v_mfma_f32_16x16x32_fp8_fp8 v[92:95], a[136:137], v[60:61], v[92:95]// 000000008F9C: D3F3005C 0D727988
	v_mfma_f32_16x16x32_fp8_fp8 v[96:99], a[152:153], v[60:61], v[96:99]// 000000008FA4: D3F30060 0D827998
	v_mfma_f32_16x16x32_fp8_fp8 v[92:95], a[138:139], v[62:63], v[92:95]// 000000008FAC: D3F3005C 0D727D8A
	v_mfma_f32_16x16x32_fp8_fp8 v[96:99], a[154:155], v[62:63], v[96:99]// 000000008FB4: D3F30060 0D827D9A
	s_waitcnt lgkmcnt(0)                                       // 000000008FBC: BF8CC07F
	v_mfma_f32_16x16x32_fp8_fp8 v[92:95], a[140:141], v[64:65], v[92:95]// 000000008FC0: D3F3005C 0D72818C
	v_mfma_f32_16x16x32_fp8_fp8 v[96:99], a[156:157], v[64:65], v[96:99]// 000000008FC8: D3F30060 0D82819C
	v_mfma_f32_16x16x32_fp8_fp8 v[92:95], a[142:143], v[66:67], v[92:95]// 000000008FD0: D3F3005C 0D72858E
	v_mfma_f32_16x16x32_fp8_fp8 v[96:99], a[158:159], v[66:67], v[96:99]// 000000008FD8: D3F30060 0D82859E
	s_addk_i32 s64, 0x100                                      // 000000008FE0: B7400100
	s_branch label_0FA4                                        // 000000008FE4: BF82F52A

0000000000008fe8 <label_1A7A>:
	s_cmp_lt_i32 s64, s62                                      // 000000008FE8: BF043E40
	s_cbranch_scc0 label_2CA4                                  // 000000008FEC: BF841228
	s_waitcnt vmcnt(10)                                        // 000000008FF0: BF8C0F7A
	s_lshl_b32 s68, s76, 2                                     // 000000008FF4: 8E44824C
	s_cmp_lt_u32 s76, s77                                      // 000000008FF8: BF0A4D4C
	s_cselect_b32 s68, s68, 0                                  // 000000008FFC: 85448044
	s_addk_i32 s76, 0x1                                        // 000000009000: B74C0001
	s_load_dword s59, s[42:43], s68                            // 000000009004: C0000ED5 00000044
	s_waitcnt lgkmcnt(0)                                       // 00000000900C: BF8CC07F
	s_mul_i32 s69, s59, s50                                    // 000000009010: 9245323B
	s_mul_i32 s71, s59, s66                                    // 000000009014: 9247423B
	s_mul_i32 s54, s78, s51                                    // 000000009018: 9236334E
	s_add_u32 s69, s69, s54                                    // 00000000901C: 80453645
	s_mov_b32 s70, s69                                         // 000000009020: BEC60045
	s_mul_i32 s54, s78, 4                                      // 000000009024: 9236844E
	s_add_u32 s71, s71, s54                                    // 000000009028: 80473647
	s_add_u32 s12, s86, s69                                    // 00000000902C: 800C4556
	s_addc_u32 s13, s87, 0                                     // 000000009030: 820D8057
	s_add_u32 s16, s88, s70                                    // 000000009034: 80104658
	s_addc_u32 s17, s89, 0                                     // 000000009038: 82118059
	s_add_u32 s20, s90, s71                                    // 00000000903C: 8014475A
	s_addc_u32 s21, s91, 0                                     // 000000009040: 8215805B
	s_add_u32 s24, s92, s71                                    // 000000009044: 8018475C
	s_addc_u32 s25, s93, 0                                     // 000000009048: 8219805D
	v_mfma_f32_16x16x32_fp8_fp8 v[4:7], a[32:33], a[0:1], 0    // 00000000904C: D3F30004 1A020120
	v_mfma_f32_16x16x32_fp8_fp8 v[4:7], a[34:35], a[2:3], v[4:7]// 000000009054: D3F30004 1C120522
	v_mfma_f32_16x16x32_fp8_fp8 v[4:7], a[36:37], a[4:5], v[4:7]// 00000000905C: D3F30004 1C120924
	buffer_load_dwordx4 a[64:67], v225, s[12:15], 0 offen      // 000000009064: E05C1000 808340E1
	v_mfma_f32_16x16x32_fp8_fp8 v[4:7], a[38:39], a[6:7], v[4:7]// 00000000906C: D3F30004 1C120D26
	v_mfma_f32_16x16x32_fp8_fp8 v[8:11], a[40:41], a[0:1], 0   // 000000009074: D3F30008 1A020128
	v_mfma_f32_16x16x32_fp8_fp8 v[8:11], a[42:43], a[2:3], v[8:11]// 00000000907C: D3F30008 1C22052A
	v_mfma_f32_16x16x32_fp8_fp8 v[8:11], a[44:45], a[4:5], v[8:11]// 000000009084: D3F30008 1C22092C
	buffer_load_dwordx4 a[68:71], v226, s[12:15], 0 offen      // 00000000908C: E05C1000 808344E2
	v_mfma_f32_16x16x32_fp8_fp8 v[8:11], a[46:47], a[6:7], v[8:11]// 000000009094: D3F30008 1C220D2E
	v_mfma_f32_16x16x32_fp8_fp8 v[12:15], a[48:49], a[0:1], 0  // 00000000909C: D3F3000C 1A020130
	v_mfma_f32_16x16x32_fp8_fp8 v[12:15], a[50:51], a[2:3], v[12:15]// 0000000090A4: D3F3000C 1C320532
	v_mfma_f32_16x16x32_fp8_fp8 v[12:15], a[52:53], a[4:5], v[12:15]// 0000000090AC: D3F3000C 1C320934
	buffer_load_dwordx4 a[72:75], v225, s[12:15], 0 offen offset:1024// 0000000090B4: E05C1400 808348E1
	v_mfma_f32_16x16x32_fp8_fp8 v[12:15], a[54:55], a[6:7], v[12:15]// 0000000090BC: D3F3000C 1C320D36
	v_mfma_f32_16x16x32_fp8_fp8 v[16:19], a[56:57], a[0:1], 0  // 0000000090C4: D3F30010 1A020138
	v_mfma_f32_16x16x32_fp8_fp8 v[16:19], a[58:59], a[2:3], v[16:19]// 0000000090CC: D3F30010 1C42053A
	v_mfma_f32_16x16x32_fp8_fp8 v[16:19], a[60:61], a[4:5], v[16:19]// 0000000090D4: D3F30010 1C42093C
	buffer_load_dwordx4 a[76:79], v226, s[12:15], 0 offen offset:1024// 0000000090DC: E05C1400 80834CE2
	v_mfma_f32_16x16x32_fp8_fp8 v[16:19], a[62:63], a[6:7], v[16:19]// 0000000090E4: D3F30010 1C420D3E
	v_mfma_f32_16x16x32_fp8_fp8 v[20:23], a[32:33], a[8:9], 0  // 0000000090EC: D3F30014 1A021120
	v_mfma_f32_16x16x32_fp8_fp8 v[20:23], a[34:35], a[10:11], v[20:23]// 0000000090F4: D3F30014 1C521522
	v_mfma_f32_16x16x32_fp8_fp8 v[20:23], a[36:37], a[12:13], v[20:23]// 0000000090FC: D3F30014 1C521924
	buffer_load_dwordx4 a[80:83], v225, s[12:15], 0 offen offset:2048// 000000009104: E05C1800 808350E1
	v_mfma_f32_16x16x32_fp8_fp8 v[20:23], a[38:39], a[14:15], v[20:23]// 00000000910C: D3F30014 1C521D26
	v_mfma_f32_16x16x32_fp8_fp8 v[24:27], a[40:41], a[8:9], 0  // 000000009114: D3F30018 1A021128
	v_mfma_f32_16x16x32_fp8_fp8 v[24:27], a[42:43], a[10:11], v[24:27]// 00000000911C: D3F30018 1C62152A
	v_mfma_f32_16x16x32_fp8_fp8 v[24:27], a[44:45], a[12:13], v[24:27]// 000000009124: D3F30018 1C62192C
	buffer_load_dwordx4 a[84:87], v226, s[12:15], 0 offen offset:2048// 00000000912C: E05C1800 808354E2
	v_mfma_f32_16x16x32_fp8_fp8 v[24:27], a[46:47], a[14:15], v[24:27]// 000000009134: D3F30018 1C621D2E
	v_mfma_f32_16x16x32_fp8_fp8 v[28:31], a[48:49], a[8:9], 0  // 00000000913C: D3F3001C 1A021130
	v_mfma_f32_16x16x32_fp8_fp8 v[28:31], a[50:51], a[10:11], v[28:31]// 000000009144: D3F3001C 1C721532
	v_mfma_f32_16x16x32_fp8_fp8 v[28:31], a[52:53], a[12:13], v[28:31]// 00000000914C: D3F3001C 1C721934
	buffer_load_dwordx4 a[88:91], v225, s[12:15], 0 offen offset:3072// 000000009154: E05C1C00 808358E1
	v_mfma_f32_16x16x32_fp8_fp8 v[28:31], a[54:55], a[14:15], v[28:31]// 00000000915C: D3F3001C 1C721D36
	v_mfma_f32_16x16x32_fp8_fp8 v[32:35], a[56:57], a[8:9], 0  // 000000009164: D3F30020 1A021138
	v_mfma_f32_16x16x32_fp8_fp8 v[32:35], a[58:59], a[10:11], v[32:35]// 00000000916C: D3F30020 1C82153A
	v_mfma_f32_16x16x32_fp8_fp8 v[32:35], a[60:61], a[12:13], v[32:35]// 000000009174: D3F30020 1C82193C
	buffer_load_dwordx4 a[92:95], v226, s[12:15], 0 offen offset:3072// 00000000917C: E05C1C00 80835CE2
	v_mfma_f32_16x16x32_fp8_fp8 v[32:35], a[62:63], a[14:15], v[32:35]// 000000009184: D3F30020 1C821D3E
	v_mfma_f32_16x16x32_fp8_fp8 v[36:39], a[32:33], a[16:17], 0// 00000000918C: D3F30024 1A022120
	v_mfma_f32_16x16x32_fp8_fp8 v[36:39], a[34:35], a[18:19], v[36:39]// 000000009194: D3F30024 1C922522
	v_mfma_f32_16x16x32_fp8_fp8 v[36:39], a[36:37], a[20:21], v[36:39]// 00000000919C: D3F30024 1C922924
	v_mfma_f32_16x16x32_fp8_fp8 v[36:39], a[38:39], a[22:23], v[36:39]// 0000000091A4: D3F30024 1C922D26
	v_mfma_f32_16x16x32_fp8_fp8 v[40:43], a[40:41], a[16:17], 0// 0000000091AC: D3F30028 1A022128
	v_mfma_f32_16x16x32_fp8_fp8 v[40:43], a[42:43], a[18:19], v[40:43]// 0000000091B4: D3F30028 1CA2252A
	v_mfma_f32_16x16x32_fp8_fp8 v[40:43], a[44:45], a[20:21], v[40:43]// 0000000091BC: D3F30028 1CA2292C
	v_mfma_f32_16x16x32_fp8_fp8 v[40:43], a[46:47], a[22:23], v[40:43]// 0000000091C4: D3F30028 1CA22D2E
	v_mfma_f32_16x16x32_fp8_fp8 v[44:47], a[48:49], a[16:17], 0// 0000000091CC: D3F3002C 1A022130
	v_mfma_f32_16x16x32_fp8_fp8 v[44:47], a[50:51], a[18:19], v[44:47]// 0000000091D4: D3F3002C 1CB22532
	v_mfma_f32_16x16x32_fp8_fp8 v[44:47], a[52:53], a[20:21], v[44:47]// 0000000091DC: D3F3002C 1CB22934
	v_mfma_f32_16x16x32_fp8_fp8 v[44:47], a[54:55], a[22:23], v[44:47]// 0000000091E4: D3F3002C 1CB22D36
	v_mfma_f32_16x16x32_fp8_fp8 v[48:51], a[56:57], a[16:17], 0// 0000000091EC: D3F30030 1A022138
	v_mfma_f32_16x16x32_fp8_fp8 v[48:51], a[58:59], a[18:19], v[48:51]// 0000000091F4: D3F30030 1CC2253A
	v_mfma_f32_16x16x32_fp8_fp8 v[48:51], a[60:61], a[20:21], v[48:51]// 0000000091FC: D3F30030 1CC2293C
	v_mfma_f32_16x16x32_fp8_fp8 v[48:51], a[62:63], a[22:23], v[48:51]// 000000009204: D3F30030 1CC22D3E
	v_mfma_f32_16x16x32_fp8_fp8 v[52:55], a[32:33], a[24:25], 0// 00000000920C: D3F30034 1A023120
	v_mfma_f32_16x16x32_fp8_fp8 v[52:55], a[34:35], a[26:27], v[52:55]// 000000009214: D3F30034 1CD23522
	v_mfma_f32_16x16x32_fp8_fp8 v[52:55], a[36:37], a[28:29], v[52:55]// 00000000921C: D3F30034 1CD23924
	v_mfma_f32_16x16x32_fp8_fp8 v[52:55], a[38:39], a[30:31], v[52:55]// 000000009224: D3F30034 1CD23D26
	v_mfma_f32_16x16x32_fp8_fp8 v[56:59], a[40:41], a[24:25], 0// 00000000922C: D3F30038 1A023128
	v_mfma_f32_16x16x32_fp8_fp8 v[56:59], a[42:43], a[26:27], v[56:59]// 000000009234: D3F30038 1CE2352A
	v_mfma_f32_16x16x32_fp8_fp8 v[56:59], a[44:45], a[28:29], v[56:59]// 00000000923C: D3F30038 1CE2392C
	v_mfma_f32_16x16x32_fp8_fp8 v[56:59], a[46:47], a[30:31], v[56:59]// 000000009244: D3F30038 1CE23D2E
	v_mfma_f32_16x16x32_fp8_fp8 v[60:63], a[48:49], a[24:25], 0// 00000000924C: D3F3003C 1A023130
	v_mfma_f32_16x16x32_fp8_fp8 v[60:63], a[50:51], a[26:27], v[60:63]// 000000009254: D3F3003C 1CF23532
	v_mfma_f32_16x16x32_fp8_fp8 v[60:63], a[52:53], a[28:29], v[60:63]// 00000000925C: D3F3003C 1CF23934
	v_mfma_f32_16x16x32_fp8_fp8 v[60:63], a[54:55], a[30:31], v[60:63]// 000000009264: D3F3003C 1CF23D36
	v_mfma_f32_16x16x32_fp8_fp8 v[64:67], a[56:57], a[24:25], 0// 00000000926C: D3F30040 1A023138
	v_mfma_f32_16x16x32_fp8_fp8 v[64:67], a[58:59], a[26:27], v[64:67]// 000000009274: D3F30040 1D02353A
	v_mfma_f32_16x16x32_fp8_fp8 v[64:67], a[60:61], a[28:29], v[64:67]// 00000000927C: D3F30040 1D02393C
	v_mfma_f32_16x16x32_fp8_fp8 v[64:67], a[62:63], a[30:31], v[64:67]// 000000009284: D3F30040 1D023D3E
	s_waitcnt vmcnt(16)                                        // 00000000928C: BF8C4F70
	v_pk_mul_f32 v[4:5], v[132:133], v[4:5]                    // 000000009290: D3B14004 18020984
	v_pk_mul_f32 v[6:7], v[132:133], v[6:7]                    // 000000009298: D3B14006 18020D84
	v_mul_f32_dpp v4, v140, v4 row_newbcast:0 row_mask:0xf bank_mask:0xf// 0000000092A0: 0A0808FA FF01508C
	v_mul_f32_dpp v5, v140, v5 row_newbcast:1 row_mask:0xf bank_mask:0xf// 0000000092A8: 0A0A0AFA FF01518C
	v_mul_f32_dpp v6, v140, v6 row_newbcast:2 row_mask:0xf bank_mask:0xf// 0000000092B0: 0A0C0CFA FF01528C
	v_mul_f32_dpp v7, v140, v7 row_newbcast:3 row_mask:0xf bank_mask:0xf// 0000000092B8: 0A0E0EFA FF01538C
	v_pk_mul_f32 v[8:9], v[132:133], v[8:9]                    // 0000000092C0: D3B14008 18021184
	v_pk_mul_f32 v[10:11], v[132:133], v[10:11]                // 0000000092C8: D3B1400A 18021584
	v_mul_f32_dpp v8, v140, v8 row_newbcast:4 row_mask:0xf bank_mask:0xf// 0000000092D0: 0A1010FA FF01548C
	v_mul_f32_dpp v9, v140, v9 row_newbcast:5 row_mask:0xf bank_mask:0xf// 0000000092D8: 0A1212FA FF01558C
	v_mul_f32_dpp v10, v140, v10 row_newbcast:6 row_mask:0xf bank_mask:0xf// 0000000092E0: 0A1414FA FF01568C
	v_mul_f32_dpp v11, v140, v11 row_newbcast:7 row_mask:0xf bank_mask:0xf// 0000000092E8: 0A1616FA FF01578C
	v_pk_mul_f32 v[12:13], v[132:133], v[12:13]                // 0000000092F0: D3B1400C 18021984
	v_pk_mul_f32 v[14:15], v[132:133], v[14:15]                // 0000000092F8: D3B1400E 18021D84
	v_mul_f32_dpp v12, v140, v12 row_newbcast:8 row_mask:0xf bank_mask:0xf// 000000009300: 0A1818FA FF01588C
	v_mul_f32_dpp v13, v140, v13 row_newbcast:9 row_mask:0xf bank_mask:0xf// 000000009308: 0A1A1AFA FF01598C
	v_mul_f32_dpp v14, v140, v14 row_newbcast:10 row_mask:0xf bank_mask:0xf// 000000009310: 0A1C1CFA FF015A8C
	v_mul_f32_dpp v15, v140, v15 row_newbcast:11 row_mask:0xf bank_mask:0xf// 000000009318: 0A1E1EFA FF015B8C
	v_pk_mul_f32 v[16:17], v[132:133], v[16:17]                // 000000009320: D3B14010 18022184
	v_pk_mul_f32 v[18:19], v[132:133], v[18:19]                // 000000009328: D3B14012 18022584
	v_mul_f32_dpp v16, v140, v16 row_newbcast:12 row_mask:0xf bank_mask:0xf// 000000009330: 0A2020FA FF015C8C
	v_mul_f32_dpp v17, v140, v17 row_newbcast:13 row_mask:0xf bank_mask:0xf// 000000009338: 0A2222FA FF015D8C
	v_mul_f32_dpp v18, v140, v18 row_newbcast:14 row_mask:0xf bank_mask:0xf// 000000009340: 0A2424FA FF015E8C
	v_mul_f32_dpp v19, v140, v19 row_newbcast:15 row_mask:0xf bank_mask:0xf// 000000009348: 0A2626FA FF015F8C
	v_pk_mul_f32 v[20:21], v[134:135], v[20:21]                // 000000009350: D3B14014 18022986
	v_pk_mul_f32 v[22:23], v[134:135], v[22:23]                // 000000009358: D3B14016 18022D86
	v_mul_f32_dpp v20, v140, v20 row_newbcast:0 row_mask:0xf bank_mask:0xf// 000000009360: 0A2828FA FF01508C
	v_mul_f32_dpp v21, v140, v21 row_newbcast:1 row_mask:0xf bank_mask:0xf// 000000009368: 0A2A2AFA FF01518C
	v_mul_f32_dpp v22, v140, v22 row_newbcast:2 row_mask:0xf bank_mask:0xf// 000000009370: 0A2C2CFA FF01528C
	v_mul_f32_dpp v23, v140, v23 row_newbcast:3 row_mask:0xf bank_mask:0xf// 000000009378: 0A2E2EFA FF01538C
	v_pk_mul_f32 v[24:25], v[134:135], v[24:25]                // 000000009380: D3B14018 18023186
	v_pk_mul_f32 v[26:27], v[134:135], v[26:27]                // 000000009388: D3B1401A 18023586
	v_mul_f32_dpp v24, v140, v24 row_newbcast:4 row_mask:0xf bank_mask:0xf// 000000009390: 0A3030FA FF01548C
	v_mul_f32_dpp v25, v140, v25 row_newbcast:5 row_mask:0xf bank_mask:0xf// 000000009398: 0A3232FA FF01558C
	v_mul_f32_dpp v26, v140, v26 row_newbcast:6 row_mask:0xf bank_mask:0xf// 0000000093A0: 0A3434FA FF01568C
	v_mul_f32_dpp v27, v140, v27 row_newbcast:7 row_mask:0xf bank_mask:0xf// 0000000093A8: 0A3636FA FF01578C
	v_pk_mul_f32 v[28:29], v[134:135], v[28:29]                // 0000000093B0: D3B1401C 18023986
	v_pk_mul_f32 v[30:31], v[134:135], v[30:31]                // 0000000093B8: D3B1401E 18023D86
	v_mul_f32_dpp v28, v140, v28 row_newbcast:8 row_mask:0xf bank_mask:0xf// 0000000093C0: 0A3838FA FF01588C
	v_mul_f32_dpp v29, v140, v29 row_newbcast:9 row_mask:0xf bank_mask:0xf// 0000000093C8: 0A3A3AFA FF01598C
	v_mul_f32_dpp v30, v140, v30 row_newbcast:10 row_mask:0xf bank_mask:0xf// 0000000093D0: 0A3C3CFA FF015A8C
	v_mul_f32_dpp v31, v140, v31 row_newbcast:11 row_mask:0xf bank_mask:0xf// 0000000093D8: 0A3E3EFA FF015B8C
	v_pk_mul_f32 v[32:33], v[134:135], v[32:33]                // 0000000093E0: D3B14020 18024186
	v_pk_mul_f32 v[34:35], v[134:135], v[34:35]                // 0000000093E8: D3B14022 18024586
	v_mul_f32_dpp v32, v140, v32 row_newbcast:12 row_mask:0xf bank_mask:0xf// 0000000093F0: 0A4040FA FF015C8C
	v_mul_f32_dpp v33, v140, v33 row_newbcast:13 row_mask:0xf bank_mask:0xf// 0000000093F8: 0A4242FA FF015D8C
	v_mul_f32_dpp v34, v140, v34 row_newbcast:14 row_mask:0xf bank_mask:0xf// 000000009400: 0A4444FA FF015E8C
	v_mul_f32_dpp v35, v140, v35 row_newbcast:15 row_mask:0xf bank_mask:0xf// 000000009408: 0A4646FA FF015F8C
	v_pk_mul_f32 v[36:37], v[136:137], v[36:37]                // 000000009410: D3B14024 18024988
	v_pk_mul_f32 v[38:39], v[136:137], v[38:39]                // 000000009418: D3B14026 18024D88
	v_mul_f32_dpp v36, v140, v36 row_newbcast:0 row_mask:0xf bank_mask:0xf// 000000009420: 0A4848FA FF01508C
	v_mul_f32_dpp v37, v140, v37 row_newbcast:1 row_mask:0xf bank_mask:0xf// 000000009428: 0A4A4AFA FF01518C
	v_mul_f32_dpp v38, v140, v38 row_newbcast:2 row_mask:0xf bank_mask:0xf// 000000009430: 0A4C4CFA FF01528C
	v_mul_f32_dpp v39, v140, v39 row_newbcast:3 row_mask:0xf bank_mask:0xf// 000000009438: 0A4E4EFA FF01538C
	v_pk_mul_f32 v[40:41], v[136:137], v[40:41]                // 000000009440: D3B14028 18025188
	v_pk_mul_f32 v[42:43], v[136:137], v[42:43]                // 000000009448: D3B1402A 18025588
	v_mul_f32_dpp v40, v140, v40 row_newbcast:4 row_mask:0xf bank_mask:0xf// 000000009450: 0A5050FA FF01548C
	v_mul_f32_dpp v41, v140, v41 row_newbcast:5 row_mask:0xf bank_mask:0xf// 000000009458: 0A5252FA FF01558C
	v_mul_f32_dpp v42, v140, v42 row_newbcast:6 row_mask:0xf bank_mask:0xf// 000000009460: 0A5454FA FF01568C
	v_mul_f32_dpp v43, v140, v43 row_newbcast:7 row_mask:0xf bank_mask:0xf// 000000009468: 0A5656FA FF01578C
	v_pk_mul_f32 v[44:45], v[136:137], v[44:45]                // 000000009470: D3B1402C 18025988
	v_pk_mul_f32 v[46:47], v[136:137], v[46:47]                // 000000009478: D3B1402E 18025D88
	v_mul_f32_dpp v44, v140, v44 row_newbcast:8 row_mask:0xf bank_mask:0xf// 000000009480: 0A5858FA FF01588C
	v_mul_f32_dpp v45, v140, v45 row_newbcast:9 row_mask:0xf bank_mask:0xf// 000000009488: 0A5A5AFA FF01598C
	v_mul_f32_dpp v46, v140, v46 row_newbcast:10 row_mask:0xf bank_mask:0xf// 000000009490: 0A5C5CFA FF015A8C
	v_mul_f32_dpp v47, v140, v47 row_newbcast:11 row_mask:0xf bank_mask:0xf// 000000009498: 0A5E5EFA FF015B8C
	v_pk_mul_f32 v[48:49], v[136:137], v[48:49]                // 0000000094A0: D3B14030 18026188
	v_pk_mul_f32 v[50:51], v[136:137], v[50:51]                // 0000000094A8: D3B14032 18026588
	v_mul_f32_dpp v48, v140, v48 row_newbcast:12 row_mask:0xf bank_mask:0xf// 0000000094B0: 0A6060FA FF015C8C
	v_mul_f32_dpp v49, v140, v49 row_newbcast:13 row_mask:0xf bank_mask:0xf// 0000000094B8: 0A6262FA FF015D8C
	v_mul_f32_dpp v50, v140, v50 row_newbcast:14 row_mask:0xf bank_mask:0xf// 0000000094C0: 0A6464FA FF015E8C
	v_mul_f32_dpp v51, v140, v51 row_newbcast:15 row_mask:0xf bank_mask:0xf// 0000000094C8: 0A6666FA FF015F8C
	v_pk_mul_f32 v[52:53], v[138:139], v[52:53]                // 0000000094D0: D3B14034 1802698A
	v_pk_mul_f32 v[54:55], v[138:139], v[54:55]                // 0000000094D8: D3B14036 18026D8A
	v_mul_f32_dpp v52, v140, v52 row_newbcast:0 row_mask:0xf bank_mask:0xf// 0000000094E0: 0A6868FA FF01508C
	v_mul_f32_dpp v53, v140, v53 row_newbcast:1 row_mask:0xf bank_mask:0xf// 0000000094E8: 0A6A6AFA FF01518C
	v_mul_f32_dpp v54, v140, v54 row_newbcast:2 row_mask:0xf bank_mask:0xf// 0000000094F0: 0A6C6CFA FF01528C
	v_mul_f32_dpp v55, v140, v55 row_newbcast:3 row_mask:0xf bank_mask:0xf// 0000000094F8: 0A6E6EFA FF01538C
	v_pk_mul_f32 v[56:57], v[138:139], v[56:57]                // 000000009500: D3B14038 1802718A
	v_pk_mul_f32 v[58:59], v[138:139], v[58:59]                // 000000009508: D3B1403A 1802758A
	v_mul_f32_dpp v56, v140, v56 row_newbcast:4 row_mask:0xf bank_mask:0xf// 000000009510: 0A7070FA FF01548C
	v_mul_f32_dpp v57, v140, v57 row_newbcast:5 row_mask:0xf bank_mask:0xf// 000000009518: 0A7272FA FF01558C
	v_mul_f32_dpp v58, v140, v58 row_newbcast:6 row_mask:0xf bank_mask:0xf// 000000009520: 0A7474FA FF01568C
	v_mul_f32_dpp v59, v140, v59 row_newbcast:7 row_mask:0xf bank_mask:0xf// 000000009528: 0A7676FA FF01578C
	v_pk_mul_f32 v[60:61], v[138:139], v[60:61]                // 000000009530: D3B1403C 1802798A
	v_pk_mul_f32 v[62:63], v[138:139], v[62:63]                // 000000009538: D3B1403E 18027D8A
	v_mul_f32_dpp v60, v140, v60 row_newbcast:8 row_mask:0xf bank_mask:0xf// 000000009540: 0A7878FA FF01588C
	v_mul_f32_dpp v61, v140, v61 row_newbcast:9 row_mask:0xf bank_mask:0xf// 000000009548: 0A7A7AFA FF01598C
	v_mul_f32_dpp v62, v140, v62 row_newbcast:10 row_mask:0xf bank_mask:0xf// 000000009550: 0A7C7CFA FF015A8C
	v_mul_f32_dpp v63, v140, v63 row_newbcast:11 row_mask:0xf bank_mask:0xf// 000000009558: 0A7E7EFA FF015B8C
	v_pk_mul_f32 v[64:65], v[138:139], v[64:65]                // 000000009560: D3B14040 1802818A
	v_pk_mul_f32 v[66:67], v[138:139], v[66:67]                // 000000009568: D3B14042 1802858A
	v_mul_f32_dpp v64, v140, v64 row_newbcast:12 row_mask:0xf bank_mask:0xf// 000000009570: 0A8080FA FF015C8C
	v_mul_f32_dpp v65, v140, v65 row_newbcast:13 row_mask:0xf bank_mask:0xf// 000000009578: 0A8282FA FF015D8C
	v_mul_f32_dpp v66, v140, v66 row_newbcast:14 row_mask:0xf bank_mask:0xf// 000000009580: 0A8484FA FF015E8C
	v_mul_f32_dpp v67, v140, v67 row_newbcast:15 row_mask:0xf bank_mask:0xf// 000000009588: 0A8686FA FF015F8C
	v_add_u32_e32 v196, s64, v215                              // 000000009590: 6989AE40
	v_add_u32_e32 v197, 0, v196                                // 000000009594: 698B8880
	v_cmp_lt_u32_e64 s[98:99], v197, v211                      // 000000009598: D0C90062 0003A7C5
	s_nop 0                                                    // 0000000095A0: BF800000
	v_cndmask_b32_e64 v4, v216, v4, s[98:99]                   // 0000000095A4: D1000004 018A09D8
	v_add_u32_e32 v197, 1, v196                                // 0000000095AC: 698B8881
	v_cmp_lt_u32_e64 s[98:99], v197, v211                      // 0000000095B0: D0C90062 0003A7C5
	s_nop 0                                                    // 0000000095B8: BF800000
	v_cndmask_b32_e64 v5, v216, v5, s[98:99]                   // 0000000095BC: D1000005 018A0BD8
	v_add_u32_e32 v197, 2, v196                                // 0000000095C4: 698B8882
	v_cmp_lt_u32_e64 s[98:99], v197, v211                      // 0000000095C8: D0C90062 0003A7C5
	s_nop 0                                                    // 0000000095D0: BF800000
	v_cndmask_b32_e64 v6, v216, v6, s[98:99]                   // 0000000095D4: D1000006 018A0DD8
	v_add_u32_e32 v197, 3, v196                                // 0000000095DC: 698B8883
	v_cmp_lt_u32_e64 s[98:99], v197, v211                      // 0000000095E0: D0C90062 0003A7C5
	s_nop 0                                                    // 0000000095E8: BF800000
	v_cndmask_b32_e64 v7, v216, v7, s[98:99]                   // 0000000095EC: D1000007 018A0FD8
	v_add_u32_e32 v197, 64, v196                               // 0000000095F4: 698B88C0
	v_cmp_lt_u32_e64 s[98:99], v197, v211                      // 0000000095F8: D0C90062 0003A7C5
	s_nop 0                                                    // 000000009600: BF800000
	v_cndmask_b32_e64 v8, v216, v8, s[98:99]                   // 000000009604: D1000008 018A11D8
	v_add_u32_e32 v197, 0x41, v196                             // 00000000960C: 698B88FF 00000041
	v_cmp_lt_u32_e64 s[98:99], v197, v211                      // 000000009614: D0C90062 0003A7C5
	s_nop 0                                                    // 00000000961C: BF800000
	v_cndmask_b32_e64 v9, v216, v9, s[98:99]                   // 000000009620: D1000009 018A13D8
	v_add_u32_e32 v197, 0x42, v196                             // 000000009628: 698B88FF 00000042
	v_cmp_lt_u32_e64 s[98:99], v197, v211                      // 000000009630: D0C90062 0003A7C5
	s_nop 0                                                    // 000000009638: BF800000
	v_cndmask_b32_e64 v10, v216, v10, s[98:99]                 // 00000000963C: D100000A 018A15D8
	v_add_u32_e32 v197, 0x43, v196                             // 000000009644: 698B88FF 00000043
	v_cmp_lt_u32_e64 s[98:99], v197, v211                      // 00000000964C: D0C90062 0003A7C5
	s_nop 0                                                    // 000000009654: BF800000
	v_cndmask_b32_e64 v11, v216, v11, s[98:99]                 // 000000009658: D100000B 018A17D8
	v_add_u32_e32 v197, 0x80, v196                             // 000000009660: 698B88FF 00000080
	v_cmp_lt_u32_e64 s[98:99], v197, v211                      // 000000009668: D0C90062 0003A7C5
	s_nop 0                                                    // 000000009670: BF800000
	v_cndmask_b32_e64 v12, v216, v12, s[98:99]                 // 000000009674: D100000C 018A19D8
	v_add_u32_e32 v197, 0x81, v196                             // 00000000967C: 698B88FF 00000081
	v_cmp_lt_u32_e64 s[98:99], v197, v211                      // 000000009684: D0C90062 0003A7C5
	s_nop 0                                                    // 00000000968C: BF800000
	v_cndmask_b32_e64 v13, v216, v13, s[98:99]                 // 000000009690: D100000D 018A1BD8
	v_add_u32_e32 v197, 0x82, v196                             // 000000009698: 698B88FF 00000082
	v_cmp_lt_u32_e64 s[98:99], v197, v211                      // 0000000096A0: D0C90062 0003A7C5
	s_nop 0                                                    // 0000000096A8: BF800000
	v_cndmask_b32_e64 v14, v216, v14, s[98:99]                 // 0000000096AC: D100000E 018A1DD8
	v_add_u32_e32 v197, 0x83, v196                             // 0000000096B4: 698B88FF 00000083
	v_cmp_lt_u32_e64 s[98:99], v197, v211                      // 0000000096BC: D0C90062 0003A7C5
	s_nop 0                                                    // 0000000096C4: BF800000
	v_cndmask_b32_e64 v15, v216, v15, s[98:99]                 // 0000000096C8: D100000F 018A1FD8
	v_add_u32_e32 v197, 0xc0, v196                             // 0000000096D0: 698B88FF 000000C0
	v_cmp_lt_u32_e64 s[98:99], v197, v211                      // 0000000096D8: D0C90062 0003A7C5
	s_nop 0                                                    // 0000000096E0: BF800000
	v_cndmask_b32_e64 v16, v216, v16, s[98:99]                 // 0000000096E4: D1000010 018A21D8
	v_add_u32_e32 v197, 0xc1, v196                             // 0000000096EC: 698B88FF 000000C1
	v_cmp_lt_u32_e64 s[98:99], v197, v211                      // 0000000096F4: D0C90062 0003A7C5
	s_nop 0                                                    // 0000000096FC: BF800000
	v_cndmask_b32_e64 v17, v216, v17, s[98:99]                 // 000000009700: D1000011 018A23D8
	v_add_u32_e32 v197, 0xc2, v196                             // 000000009708: 698B88FF 000000C2
	v_cmp_lt_u32_e64 s[98:99], v197, v211                      // 000000009710: D0C90062 0003A7C5
	s_nop 0                                                    // 000000009718: BF800000
	v_cndmask_b32_e64 v18, v216, v18, s[98:99]                 // 00000000971C: D1000012 018A25D8
	v_add_u32_e32 v197, 0xc3, v196                             // 000000009724: 698B88FF 000000C3
	v_cmp_lt_u32_e64 s[98:99], v197, v211                      // 00000000972C: D0C90062 0003A7C5
	s_nop 0                                                    // 000000009734: BF800000
	v_cndmask_b32_e64 v19, v216, v19, s[98:99]                 // 000000009738: D1000013 018A27D8
	v_add_u32_e32 v197, 0, v196                                // 000000009740: 698B8880
	v_cmp_lt_u32_e64 s[98:99], v197, v212                      // 000000009744: D0C90062 0003A9C5
	s_nop 0                                                    // 00000000974C: BF800000
	v_cndmask_b32_e64 v20, v216, v20, s[98:99]                 // 000000009750: D1000014 018A29D8
	v_add_u32_e32 v197, 1, v196                                // 000000009758: 698B8881
	v_cmp_lt_u32_e64 s[98:99], v197, v212                      // 00000000975C: D0C90062 0003A9C5
	s_nop 0                                                    // 000000009764: BF800000
	v_cndmask_b32_e64 v21, v216, v21, s[98:99]                 // 000000009768: D1000015 018A2BD8
	v_add_u32_e32 v197, 2, v196                                // 000000009770: 698B8882
	v_cmp_lt_u32_e64 s[98:99], v197, v212                      // 000000009774: D0C90062 0003A9C5
	s_nop 0                                                    // 00000000977C: BF800000
	v_cndmask_b32_e64 v22, v216, v22, s[98:99]                 // 000000009780: D1000016 018A2DD8
	v_add_u32_e32 v197, 3, v196                                // 000000009788: 698B8883
	v_cmp_lt_u32_e64 s[98:99], v197, v212                      // 00000000978C: D0C90062 0003A9C5
	s_nop 0                                                    // 000000009794: BF800000
	v_cndmask_b32_e64 v23, v216, v23, s[98:99]                 // 000000009798: D1000017 018A2FD8
	v_add_u32_e32 v197, 64, v196                               // 0000000097A0: 698B88C0
	v_cmp_lt_u32_e64 s[98:99], v197, v212                      // 0000000097A4: D0C90062 0003A9C5
	s_nop 0                                                    // 0000000097AC: BF800000
	v_cndmask_b32_e64 v24, v216, v24, s[98:99]                 // 0000000097B0: D1000018 018A31D8
	v_add_u32_e32 v197, 0x41, v196                             // 0000000097B8: 698B88FF 00000041
	v_cmp_lt_u32_e64 s[98:99], v197, v212                      // 0000000097C0: D0C90062 0003A9C5
	s_nop 0                                                    // 0000000097C8: BF800000
	v_cndmask_b32_e64 v25, v216, v25, s[98:99]                 // 0000000097CC: D1000019 018A33D8
	v_add_u32_e32 v197, 0x42, v196                             // 0000000097D4: 698B88FF 00000042
	v_cmp_lt_u32_e64 s[98:99], v197, v212                      // 0000000097DC: D0C90062 0003A9C5
	s_nop 0                                                    // 0000000097E4: BF800000
	v_cndmask_b32_e64 v26, v216, v26, s[98:99]                 // 0000000097E8: D100001A 018A35D8
	v_add_u32_e32 v197, 0x43, v196                             // 0000000097F0: 698B88FF 00000043
	v_cmp_lt_u32_e64 s[98:99], v197, v212                      // 0000000097F8: D0C90062 0003A9C5
	s_nop 0                                                    // 000000009800: BF800000
	v_cndmask_b32_e64 v27, v216, v27, s[98:99]                 // 000000009804: D100001B 018A37D8
	v_add_u32_e32 v197, 0x80, v196                             // 00000000980C: 698B88FF 00000080
	v_cmp_lt_u32_e64 s[98:99], v197, v212                      // 000000009814: D0C90062 0003A9C5
	s_nop 0                                                    // 00000000981C: BF800000
	v_cndmask_b32_e64 v28, v216, v28, s[98:99]                 // 000000009820: D100001C 018A39D8
	v_add_u32_e32 v197, 0x81, v196                             // 000000009828: 698B88FF 00000081
	v_cmp_lt_u32_e64 s[98:99], v197, v212                      // 000000009830: D0C90062 0003A9C5
	s_nop 0                                                    // 000000009838: BF800000
	v_cndmask_b32_e64 v29, v216, v29, s[98:99]                 // 00000000983C: D100001D 018A3BD8
	v_add_u32_e32 v197, 0x82, v196                             // 000000009844: 698B88FF 00000082
	v_cmp_lt_u32_e64 s[98:99], v197, v212                      // 00000000984C: D0C90062 0003A9C5
	s_nop 0                                                    // 000000009854: BF800000
	v_cndmask_b32_e64 v30, v216, v30, s[98:99]                 // 000000009858: D100001E 018A3DD8
	v_add_u32_e32 v197, 0x83, v196                             // 000000009860: 698B88FF 00000083
	v_cmp_lt_u32_e64 s[98:99], v197, v212                      // 000000009868: D0C90062 0003A9C5
	s_nop 0                                                    // 000000009870: BF800000
	v_cndmask_b32_e64 v31, v216, v31, s[98:99]                 // 000000009874: D100001F 018A3FD8
	v_add_u32_e32 v197, 0xc0, v196                             // 00000000987C: 698B88FF 000000C0
	v_cmp_lt_u32_e64 s[98:99], v197, v212                      // 000000009884: D0C90062 0003A9C5
	s_nop 0                                                    // 00000000988C: BF800000
	v_cndmask_b32_e64 v32, v216, v32, s[98:99]                 // 000000009890: D1000020 018A41D8
	v_add_u32_e32 v197, 0xc1, v196                             // 000000009898: 698B88FF 000000C1
	v_cmp_lt_u32_e64 s[98:99], v197, v212                      // 0000000098A0: D0C90062 0003A9C5
	s_nop 0                                                    // 0000000098A8: BF800000
	v_cndmask_b32_e64 v33, v216, v33, s[98:99]                 // 0000000098AC: D1000021 018A43D8
	v_add_u32_e32 v197, 0xc2, v196                             // 0000000098B4: 698B88FF 000000C2
	v_cmp_lt_u32_e64 s[98:99], v197, v212                      // 0000000098BC: D0C90062 0003A9C5
	s_nop 0                                                    // 0000000098C4: BF800000
	v_cndmask_b32_e64 v34, v216, v34, s[98:99]                 // 0000000098C8: D1000022 018A45D8
	v_add_u32_e32 v197, 0xc3, v196                             // 0000000098D0: 698B88FF 000000C3
	v_cmp_lt_u32_e64 s[98:99], v197, v212                      // 0000000098D8: D0C90062 0003A9C5
	s_nop 0                                                    // 0000000098E0: BF800000
	v_cndmask_b32_e64 v35, v216, v35, s[98:99]                 // 0000000098E4: D1000023 018A47D8
	v_add_u32_e32 v197, 0, v196                                // 0000000098EC: 698B8880
	v_cmp_lt_u32_e64 s[98:99], v197, v213                      // 0000000098F0: D0C90062 0003ABC5
	s_nop 0                                                    // 0000000098F8: BF800000
	v_cndmask_b32_e64 v36, v216, v36, s[98:99]                 // 0000000098FC: D1000024 018A49D8
	v_add_u32_e32 v197, 1, v196                                // 000000009904: 698B8881
	v_cmp_lt_u32_e64 s[98:99], v197, v213                      // 000000009908: D0C90062 0003ABC5
	s_nop 0                                                    // 000000009910: BF800000
	v_cndmask_b32_e64 v37, v216, v37, s[98:99]                 // 000000009914: D1000025 018A4BD8
	v_add_u32_e32 v197, 2, v196                                // 00000000991C: 698B8882
	v_cmp_lt_u32_e64 s[98:99], v197, v213                      // 000000009920: D0C90062 0003ABC5
	s_nop 0                                                    // 000000009928: BF800000
	v_cndmask_b32_e64 v38, v216, v38, s[98:99]                 // 00000000992C: D1000026 018A4DD8
	v_add_u32_e32 v197, 3, v196                                // 000000009934: 698B8883
	v_cmp_lt_u32_e64 s[98:99], v197, v213                      // 000000009938: D0C90062 0003ABC5
	s_nop 0                                                    // 000000009940: BF800000
	v_cndmask_b32_e64 v39, v216, v39, s[98:99]                 // 000000009944: D1000027 018A4FD8
	v_add_u32_e32 v197, 64, v196                               // 00000000994C: 698B88C0
	v_cmp_lt_u32_e64 s[98:99], v197, v213                      // 000000009950: D0C90062 0003ABC5
	s_nop 0                                                    // 000000009958: BF800000
	v_cndmask_b32_e64 v40, v216, v40, s[98:99]                 // 00000000995C: D1000028 018A51D8
	v_add_u32_e32 v197, 0x41, v196                             // 000000009964: 698B88FF 00000041
	v_cmp_lt_u32_e64 s[98:99], v197, v213                      // 00000000996C: D0C90062 0003ABC5
	s_nop 0                                                    // 000000009974: BF800000
	v_cndmask_b32_e64 v41, v216, v41, s[98:99]                 // 000000009978: D1000029 018A53D8
	v_add_u32_e32 v197, 0x42, v196                             // 000000009980: 698B88FF 00000042
	v_cmp_lt_u32_e64 s[98:99], v197, v213                      // 000000009988: D0C90062 0003ABC5
	s_nop 0                                                    // 000000009990: BF800000
	v_cndmask_b32_e64 v42, v216, v42, s[98:99]                 // 000000009994: D100002A 018A55D8
	v_add_u32_e32 v197, 0x43, v196                             // 00000000999C: 698B88FF 00000043
	v_cmp_lt_u32_e64 s[98:99], v197, v213                      // 0000000099A4: D0C90062 0003ABC5
	s_nop 0                                                    // 0000000099AC: BF800000
	v_cndmask_b32_e64 v43, v216, v43, s[98:99]                 // 0000000099B0: D100002B 018A57D8
	v_add_u32_e32 v197, 0x80, v196                             // 0000000099B8: 698B88FF 00000080
	v_cmp_lt_u32_e64 s[98:99], v197, v213                      // 0000000099C0: D0C90062 0003ABC5
	s_nop 0                                                    // 0000000099C8: BF800000
	v_cndmask_b32_e64 v44, v216, v44, s[98:99]                 // 0000000099CC: D100002C 018A59D8
	v_add_u32_e32 v197, 0x81, v196                             // 0000000099D4: 698B88FF 00000081
	v_cmp_lt_u32_e64 s[98:99], v197, v213                      // 0000000099DC: D0C90062 0003ABC5
	s_nop 0                                                    // 0000000099E4: BF800000
	v_cndmask_b32_e64 v45, v216, v45, s[98:99]                 // 0000000099E8: D100002D 018A5BD8
	v_add_u32_e32 v197, 0x82, v196                             // 0000000099F0: 698B88FF 00000082
	v_cmp_lt_u32_e64 s[98:99], v197, v213                      // 0000000099F8: D0C90062 0003ABC5
	s_nop 0                                                    // 000000009A00: BF800000
	v_cndmask_b32_e64 v46, v216, v46, s[98:99]                 // 000000009A04: D100002E 018A5DD8
	v_add_u32_e32 v197, 0x83, v196                             // 000000009A0C: 698B88FF 00000083
	v_cmp_lt_u32_e64 s[98:99], v197, v213                      // 000000009A14: D0C90062 0003ABC5
	s_nop 0                                                    // 000000009A1C: BF800000
	v_cndmask_b32_e64 v47, v216, v47, s[98:99]                 // 000000009A20: D100002F 018A5FD8
	v_add_u32_e32 v197, 0xc0, v196                             // 000000009A28: 698B88FF 000000C0
	v_cmp_lt_u32_e64 s[98:99], v197, v213                      // 000000009A30: D0C90062 0003ABC5
	s_nop 0                                                    // 000000009A38: BF800000
	v_cndmask_b32_e64 v48, v216, v48, s[98:99]                 // 000000009A3C: D1000030 018A61D8
	v_add_u32_e32 v197, 0xc1, v196                             // 000000009A44: 698B88FF 000000C1
	v_cmp_lt_u32_e64 s[98:99], v197, v213                      // 000000009A4C: D0C90062 0003ABC5
	s_nop 0                                                    // 000000009A54: BF800000
	v_cndmask_b32_e64 v49, v216, v49, s[98:99]                 // 000000009A58: D1000031 018A63D8
	v_add_u32_e32 v197, 0xc2, v196                             // 000000009A60: 698B88FF 000000C2
	v_cmp_lt_u32_e64 s[98:99], v197, v213                      // 000000009A68: D0C90062 0003ABC5
	s_nop 0                                                    // 000000009A70: BF800000
	v_cndmask_b32_e64 v50, v216, v50, s[98:99]                 // 000000009A74: D1000032 018A65D8
	v_add_u32_e32 v197, 0xc3, v196                             // 000000009A7C: 698B88FF 000000C3
	v_cmp_lt_u32_e64 s[98:99], v197, v213                      // 000000009A84: D0C90062 0003ABC5
	s_nop 0                                                    // 000000009A8C: BF800000
	v_cndmask_b32_e64 v51, v216, v51, s[98:99]                 // 000000009A90: D1000033 018A67D8
	v_add_u32_e32 v197, 0, v196                                // 000000009A98: 698B8880
	v_cmp_lt_u32_e64 s[98:99], v197, v214                      // 000000009A9C: D0C90062 0003ADC5
	s_nop 0                                                    // 000000009AA4: BF800000
	v_cndmask_b32_e64 v52, v216, v52, s[98:99]                 // 000000009AA8: D1000034 018A69D8
	v_add_u32_e32 v197, 1, v196                                // 000000009AB0: 698B8881
	v_cmp_lt_u32_e64 s[98:99], v197, v214                      // 000000009AB4: D0C90062 0003ADC5
	s_nop 0                                                    // 000000009ABC: BF800000
	v_cndmask_b32_e64 v53, v216, v53, s[98:99]                 // 000000009AC0: D1000035 018A6BD8
	v_add_u32_e32 v197, 2, v196                                // 000000009AC8: 698B8882
	v_cmp_lt_u32_e64 s[98:99], v197, v214                      // 000000009ACC: D0C90062 0003ADC5
	s_nop 0                                                    // 000000009AD4: BF800000
	v_cndmask_b32_e64 v54, v216, v54, s[98:99]                 // 000000009AD8: D1000036 018A6DD8
	v_add_u32_e32 v197, 3, v196                                // 000000009AE0: 698B8883
	v_cmp_lt_u32_e64 s[98:99], v197, v214                      // 000000009AE4: D0C90062 0003ADC5
	s_nop 0                                                    // 000000009AEC: BF800000
	v_cndmask_b32_e64 v55, v216, v55, s[98:99]                 // 000000009AF0: D1000037 018A6FD8
	v_add_u32_e32 v197, 64, v196                               // 000000009AF8: 698B88C0
	v_cmp_lt_u32_e64 s[98:99], v197, v214                      // 000000009AFC: D0C90062 0003ADC5
	s_nop 0                                                    // 000000009B04: BF800000
	v_cndmask_b32_e64 v56, v216, v56, s[98:99]                 // 000000009B08: D1000038 018A71D8
	v_add_u32_e32 v197, 0x41, v196                             // 000000009B10: 698B88FF 00000041
	v_cmp_lt_u32_e64 s[98:99], v197, v214                      // 000000009B18: D0C90062 0003ADC5
	s_nop 0                                                    // 000000009B20: BF800000
	v_cndmask_b32_e64 v57, v216, v57, s[98:99]                 // 000000009B24: D1000039 018A73D8
	v_add_u32_e32 v197, 0x42, v196                             // 000000009B2C: 698B88FF 00000042
	v_cmp_lt_u32_e64 s[98:99], v197, v214                      // 000000009B34: D0C90062 0003ADC5
	s_nop 0                                                    // 000000009B3C: BF800000
	v_cndmask_b32_e64 v58, v216, v58, s[98:99]                 // 000000009B40: D100003A 018A75D8
	v_add_u32_e32 v197, 0x43, v196                             // 000000009B48: 698B88FF 00000043
	v_cmp_lt_u32_e64 s[98:99], v197, v214                      // 000000009B50: D0C90062 0003ADC5
	s_nop 0                                                    // 000000009B58: BF800000
	v_cndmask_b32_e64 v59, v216, v59, s[98:99]                 // 000000009B5C: D100003B 018A77D8
	v_add_u32_e32 v197, 0x80, v196                             // 000000009B64: 698B88FF 00000080
	v_cmp_lt_u32_e64 s[98:99], v197, v214                      // 000000009B6C: D0C90062 0003ADC5
	s_nop 0                                                    // 000000009B74: BF800000
	v_cndmask_b32_e64 v60, v216, v60, s[98:99]                 // 000000009B78: D100003C 018A79D8
	v_add_u32_e32 v197, 0x81, v196                             // 000000009B80: 698B88FF 00000081
	v_cmp_lt_u32_e64 s[98:99], v197, v214                      // 000000009B88: D0C90062 0003ADC5
	s_nop 0                                                    // 000000009B90: BF800000
	v_cndmask_b32_e64 v61, v216, v61, s[98:99]                 // 000000009B94: D100003D 018A7BD8
	v_add_u32_e32 v197, 0x82, v196                             // 000000009B9C: 698B88FF 00000082
	v_cmp_lt_u32_e64 s[98:99], v197, v214                      // 000000009BA4: D0C90062 0003ADC5
	s_nop 0                                                    // 000000009BAC: BF800000
	v_cndmask_b32_e64 v62, v216, v62, s[98:99]                 // 000000009BB0: D100003E 018A7DD8
	v_add_u32_e32 v197, 0x83, v196                             // 000000009BB8: 698B88FF 00000083
	v_cmp_lt_u32_e64 s[98:99], v197, v214                      // 000000009BC0: D0C90062 0003ADC5
	s_nop 0                                                    // 000000009BC8: BF800000
	v_cndmask_b32_e64 v63, v216, v63, s[98:99]                 // 000000009BCC: D100003F 018A7FD8
	v_add_u32_e32 v197, 0xc0, v196                             // 000000009BD4: 698B88FF 000000C0
	v_cmp_lt_u32_e64 s[98:99], v197, v214                      // 000000009BDC: D0C90062 0003ADC5
	s_nop 0                                                    // 000000009BE4: BF800000
	v_cndmask_b32_e64 v64, v216, v64, s[98:99]                 // 000000009BE8: D1000040 018A81D8
	v_add_u32_e32 v197, 0xc1, v196                             // 000000009BF0: 698B88FF 000000C1
	v_cmp_lt_u32_e64 s[98:99], v197, v214                      // 000000009BF8: D0C90062 0003ADC5
	s_nop 0                                                    // 000000009C00: BF800000
	v_cndmask_b32_e64 v65, v216, v65, s[98:99]                 // 000000009C04: D1000041 018A83D8
	v_add_u32_e32 v197, 0xc2, v196                             // 000000009C0C: 698B88FF 000000C2
	v_cmp_lt_u32_e64 s[98:99], v197, v214                      // 000000009C14: D0C90062 0003ADC5
	s_nop 0                                                    // 000000009C1C: BF800000
	v_cndmask_b32_e64 v66, v216, v66, s[98:99]                 // 000000009C20: D1000042 018A85D8
	v_add_u32_e32 v197, 0xc3, v196                             // 000000009C28: 698B88FF 000000C3
	v_cmp_lt_u32_e64 s[98:99], v197, v214                      // 000000009C30: D0C90062 0003ADC5
	s_nop 0                                                    // 000000009C38: BF800000
	v_cndmask_b32_e64 v67, v216, v67, s[98:99]                 // 000000009C3C: D1000043 018A87D8
	v_mov_b32_e32 v176, v4                                     // 000000009C44: 7F600304
	v_max3_f32 v176, v4, v5, v176                              // 000000009C48: D1D300B0 06C20B04
	v_max3_f32 v176, v6, v7, v176                              // 000000009C50: D1D300B0 06C20F06
	v_max3_f32 v176, v8, v9, v176                              // 000000009C58: D1D300B0 06C21308
	v_max3_f32 v176, v10, v11, v176                            // 000000009C60: D1D300B0 06C2170A
	v_max3_f32 v176, v12, v13, v176                            // 000000009C68: D1D300B0 06C21B0C
	v_max3_f32 v176, v14, v15, v176                            // 000000009C70: D1D300B0 06C21F0E
	v_max3_f32 v176, v16, v17, v176                            // 000000009C78: D1D300B0 06C22310
	v_max3_f32 v176, v18, v19, v176                            // 000000009C80: D1D300B0 06C22712
	v_mov_b32_e32 v177, v20                                    // 000000009C88: 7F620314
	v_max3_f32 v177, v20, v21, v177                            // 000000009C8C: D1D300B1 06C62B14
	v_max3_f32 v177, v22, v23, v177                            // 000000009C94: D1D300B1 06C62F16
	v_max3_f32 v177, v24, v25, v177                            // 000000009C9C: D1D300B1 06C63318
	v_max3_f32 v177, v26, v27, v177                            // 000000009CA4: D1D300B1 06C6371A
	v_max3_f32 v177, v28, v29, v177                            // 000000009CAC: D1D300B1 06C63B1C
	v_max3_f32 v177, v30, v31, v177                            // 000000009CB4: D1D300B1 06C63F1E
	v_max3_f32 v177, v32, v33, v177                            // 000000009CBC: D1D300B1 06C64320
	v_max3_f32 v177, v34, v35, v177                            // 000000009CC4: D1D300B1 06C64722
	v_mov_b32_e32 v178, v36                                    // 000000009CCC: 7F640324
	v_max3_f32 v178, v36, v37, v178                            // 000000009CD0: D1D300B2 06CA4B24
	v_max3_f32 v178, v38, v39, v178                            // 000000009CD8: D1D300B2 06CA4F26
	v_max3_f32 v178, v40, v41, v178                            // 000000009CE0: D1D300B2 06CA5328
	v_max3_f32 v178, v42, v43, v178                            // 000000009CE8: D1D300B2 06CA572A
	v_max3_f32 v178, v44, v45, v178                            // 000000009CF0: D1D300B2 06CA5B2C
	v_max3_f32 v178, v46, v47, v178                            // 000000009CF8: D1D300B2 06CA5F2E
	v_max3_f32 v178, v48, v49, v178                            // 000000009D00: D1D300B2 06CA6330
	v_max3_f32 v178, v50, v51, v178                            // 000000009D08: D1D300B2 06CA6732
	v_mov_b32_e32 v179, v52                                    // 000000009D10: 7F660334
	v_max3_f32 v179, v52, v53, v179                            // 000000009D14: D1D300B3 06CE6B34
	v_max3_f32 v179, v54, v55, v179                            // 000000009D1C: D1D300B3 06CE6F36
	v_max3_f32 v179, v56, v57, v179                            // 000000009D24: D1D300B3 06CE7338
	v_max3_f32 v179, v58, v59, v179                            // 000000009D2C: D1D300B3 06CE773A
	v_max3_f32 v179, v60, v61, v179                            // 000000009D34: D1D300B3 06CE7B3C
	v_max3_f32 v179, v62, v63, v179                            // 000000009D3C: D1D300B3 06CE7F3E
	v_max3_f32 v179, v64, v65, v179                            // 000000009D44: D1D300B3 06CE8340
	v_max3_f32 v179, v66, v67, v179                            // 000000009D4C: D1D300B3 06CE8742
	ds_bpermute_b32 v180, v200, v176                           // 000000009D54: D87E0000 B400B0C8
	ds_bpermute_b32 v181, v201, v176                           // 000000009D5C: D87E0000 B500B0C9
	ds_bpermute_b32 v182, v202, v176                           // 000000009D64: D87E0000 B600B0CA
	ds_bpermute_b32 v183, v200, v177                           // 000000009D6C: D87E0000 B700B1C8
	ds_bpermute_b32 v184, v201, v177                           // 000000009D74: D87E0000 B800B1C9
	ds_bpermute_b32 v185, v202, v177                           // 000000009D7C: D87E0000 B900B1CA
	ds_bpermute_b32 v186, v200, v178                           // 000000009D84: D87E0000 BA00B2C8
	ds_bpermute_b32 v187, v201, v178                           // 000000009D8C: D87E0000 BB00B2C9
	ds_bpermute_b32 v188, v202, v178                           // 000000009D94: D87E0000 BC00B2CA
	ds_bpermute_b32 v189, v200, v179                           // 000000009D9C: D87E0000 BD00B3C8
	ds_bpermute_b32 v190, v201, v179                           // 000000009DA4: D87E0000 BE00B3C9
	ds_bpermute_b32 v191, v202, v179                           // 000000009DAC: D87E0000 BF00B3CA
	v_pk_mul_f32 v[100:101], v[160:161], v[100:101]            // 000000009DB4: D3B14064 1802C9A0
	v_pk_mul_f32 v[102:103], v[160:161], v[102:103]            // 000000009DBC: D3B14066 1802CDA0
	v_pk_mul_f32 v[104:105], v[160:161], v[104:105]            // 000000009DC4: D3B14068 1802D1A0
	v_pk_mul_f32 v[106:107], v[160:161], v[106:107]            // 000000009DCC: D3B1406A 1802D5A0
	v_pk_mul_f32 v[108:109], v[162:163], v[108:109]            // 000000009DD4: D3B1406C 1802D9A2
	v_pk_mul_f32 v[110:111], v[162:163], v[110:111]            // 000000009DDC: D3B1406E 1802DDA2
	v_pk_mul_f32 v[112:113], v[162:163], v[112:113]            // 000000009DE4: D3B14070 1802E1A2
	v_pk_mul_f32 v[114:115], v[162:163], v[114:115]            // 000000009DEC: D3B14072 1802E5A2
	v_pk_mul_f32 v[116:117], v[164:165], v[116:117]            // 000000009DF4: D3B14074 1802E9A4
	v_pk_mul_f32 v[118:119], v[164:165], v[118:119]            // 000000009DFC: D3B14076 1802EDA4
	v_pk_mul_f32 v[120:121], v[164:165], v[120:121]            // 000000009E04: D3B14078 1802F1A4
	v_pk_mul_f32 v[122:123], v[164:165], v[122:123]            // 000000009E0C: D3B1407A 1802F5A4
	v_pk_mul_f32 v[124:125], v[166:167], v[124:125]            // 000000009E14: D3B1407C 1802F9A6
	v_pk_mul_f32 v[126:127], v[166:167], v[126:127]            // 000000009E1C: D3B1407E 1802FDA6
	v_pk_mul_f32 v[128:129], v[166:167], v[128:129]            // 000000009E24: D3B14080 180301A6
	v_pk_mul_f32 v[130:131], v[166:167], v[130:131]            // 000000009E2C: D3B14082 180305A6
	s_waitcnt lgkmcnt(9)                                       // 000000009E34: BF8CC97F
	v_max3_f32 v176, v180, v181, v176                          // 000000009E38: D1D300B0 06C36BB4
	v_max_f32_e32 v176, v182, v176                             // 000000009E40: 176161B6
	s_waitcnt lgkmcnt(6)                                       // 000000009E44: BF8CC67F
	v_max3_f32 v177, v183, v184, v177                          // 000000009E48: D1D300B1 06C771B7
	v_max_f32_e32 v177, v185, v177                             // 000000009E50: 176363B9
	s_waitcnt lgkmcnt(3)                                       // 000000009E54: BF8CC37F
	v_max3_f32 v178, v186, v187, v178                          // 000000009E58: D1D300B2 06CB77BA
	v_max_f32_e32 v178, v188, v178                             // 000000009E60: 176565BC
	s_waitcnt lgkmcnt(0)                                       // 000000009E64: BF8CC07F
	v_max3_f32 v179, v189, v190, v179                          // 000000009E68: D1D300B3 06CF7DBD
	v_max_f32_e32 v179, v191, v179                             // 000000009E70: 176767BF
	ds_write_b128 v247, v[176:179]                             // 000000009E74: D9BE0000 0000B0F7
	s_waitcnt lgkmcnt(0)                                       // 000000009E7C: BF8CC07F
	s_barrier                                                  // 000000009E80: BF8A0000
	ds_read_b128 v[180:183], v248                              // 000000009E84: D9FE0000 B40000F8
	ds_read_b128 v[184:187], v248 offset:256                   // 000000009E8C: D9FE0100 B80000F8
	ds_read_b128 v[188:191], v248 offset:512                   // 000000009E94: D9FE0200 BC0000F8
	ds_read_b128 v[192:195], v248 offset:768                   // 000000009E9C: D9FE0300 C00000F8
	v_pk_mul_f32 v[68:69], v[144:145], v[68:69]                // 000000009EA4: D3B14044 18028990
	v_pk_mul_f32 v[70:71], v[144:145], v[70:71]                // 000000009EAC: D3B14046 18028D90
	v_pk_mul_f32 v[72:73], v[144:145], v[72:73]                // 000000009EB4: D3B14048 18029190
	v_pk_mul_f32 v[74:75], v[144:145], v[74:75]                // 000000009EBC: D3B1404A 18029590
	v_pk_mul_f32 v[76:77], v[146:147], v[76:77]                // 000000009EC4: D3B1404C 18029992
	v_pk_mul_f32 v[78:79], v[146:147], v[78:79]                // 000000009ECC: D3B1404E 18029D92
	v_pk_mul_f32 v[80:81], v[146:147], v[80:81]                // 000000009ED4: D3B14050 1802A192
	v_pk_mul_f32 v[82:83], v[146:147], v[82:83]                // 000000009EDC: D3B14052 1802A592
	v_pk_mul_f32 v[84:85], v[148:149], v[84:85]                // 000000009EE4: D3B14054 1802A994
	v_pk_mul_f32 v[86:87], v[148:149], v[86:87]                // 000000009EEC: D3B14056 1802AD94
	v_pk_mul_f32 v[88:89], v[148:149], v[88:89]                // 000000009EF4: D3B14058 1802B194
	v_pk_mul_f32 v[90:91], v[148:149], v[90:91]                // 000000009EFC: D3B1405A 1802B594
	v_pk_mul_f32 v[92:93], v[150:151], v[92:93]                // 000000009F04: D3B1405C 1802B996
	v_pk_mul_f32 v[94:95], v[150:151], v[94:95]                // 000000009F0C: D3B1405E 1802BD96
	v_pk_mul_f32 v[96:97], v[150:151], v[96:97]                // 000000009F14: D3B14060 1802C196
	v_pk_mul_f32 v[98:99], v[150:151], v[98:99]                // 000000009F1C: D3B14062 1802C596
	s_waitcnt lgkmcnt(0)                                       // 000000009F24: BF8CC07F
	v_max3_f32 v176, v180, v184, v176                          // 000000009F28: D1D300B0 06C371B4
	v_max3_f32 v177, v181, v185, v177                          // 000000009F30: D1D300B1 06C773B5
	v_max3_f32 v178, v182, v186, v178                          // 000000009F38: D1D300B2 06CB75B6
	v_max3_f32 v179, v183, v187, v179                          // 000000009F40: D1D300B3 06CF77B7
	v_max3_f32 v176, v188, v192, v176                          // 000000009F48: D1D300B0 06C381BC
	v_max3_f32 v177, v189, v193, v177                          // 000000009F50: D1D300B1 06C783BD
	v_max3_f32 v178, v190, v194, v178                          // 000000009F58: D1D300B2 06CB85BE
	v_max3_f32 v179, v191, v195, v179                          // 000000009F60: D1D300B3 06CF87BF
	v_max_f32_e32 v156, v176, v152                             // 000000009F68: 173931B0
	v_mul_f32_e64 v196, -s46, v156                             // 000000009F6C: D10500C4 2003382E
	v_mov_b32_e32 v197, v196                                   // 000000009F74: 7F8A03C4
	v_pk_fma_f32 v[4:5], v[4:5], s[46:47], v[196:197]          // 000000009F78: D3B04004 1F105D04
	v_pk_fma_f32 v[6:7], v[6:7], s[46:47], v[196:197]          // 000000009F80: D3B04006 1F105D06
	v_exp_f32_e32 v4, v4                                       // 000000009F88: 7E084104
	v_exp_f32_e32 v5, v5                                       // 000000009F8C: 7E0A4105
	v_exp_f32_e32 v6, v6                                       // 000000009F90: 7E0C4106
	v_exp_f32_e32 v7, v7                                       // 000000009F94: 7E0E4107
	v_pk_fma_f32 v[8:9], v[8:9], s[46:47], v[196:197]          // 000000009F98: D3B04008 1F105D08
	v_pk_fma_f32 v[10:11], v[10:11], s[46:47], v[196:197]      // 000000009FA0: D3B0400A 1F105D0A
	v_exp_f32_e32 v8, v8                                       // 000000009FA8: 7E104108
	v_exp_f32_e32 v9, v9                                       // 000000009FAC: 7E124109
	v_exp_f32_e32 v10, v10                                     // 000000009FB0: 7E14410A
	v_exp_f32_e32 v11, v11                                     // 000000009FB4: 7E16410B
	v_pk_fma_f32 v[12:13], v[12:13], s[46:47], v[196:197]      // 000000009FB8: D3B0400C 1F105D0C
	v_pk_fma_f32 v[14:15], v[14:15], s[46:47], v[196:197]      // 000000009FC0: D3B0400E 1F105D0E
	v_exp_f32_e32 v12, v12                                     // 000000009FC8: 7E18410C
	v_exp_f32_e32 v13, v13                                     // 000000009FCC: 7E1A410D
	v_exp_f32_e32 v14, v14                                     // 000000009FD0: 7E1C410E
	v_exp_f32_e32 v15, v15                                     // 000000009FD4: 7E1E410F
	v_pk_fma_f32 v[16:17], v[16:17], s[46:47], v[196:197]      // 000000009FD8: D3B04010 1F105D10
	v_pk_fma_f32 v[18:19], v[18:19], s[46:47], v[196:197]      // 000000009FE0: D3B04012 1F105D12
	v_exp_f32_e32 v16, v16                                     // 000000009FE8: 7E204110
	v_exp_f32_e32 v17, v17                                     // 000000009FEC: 7E224111
	v_exp_f32_e32 v18, v18                                     // 000000009FF0: 7E244112
	v_exp_f32_e32 v19, v19                                     // 000000009FF4: 7E264113
	v_max_f32_e32 v157, v177, v153                             // 000000009FF8: 173B33B1
	v_mul_f32_e64 v196, -s46, v157                             // 000000009FFC: D10500C4 20033A2E
	v_mov_b32_e32 v197, v196                                   // 00000000A004: 7F8A03C4
	v_pk_fma_f32 v[20:21], v[20:21], s[46:47], v[196:197]      // 00000000A008: D3B04014 1F105D14
	v_pk_fma_f32 v[22:23], v[22:23], s[46:47], v[196:197]      // 00000000A010: D3B04016 1F105D16
	v_exp_f32_e32 v20, v20                                     // 00000000A018: 7E284114
	v_exp_f32_e32 v21, v21                                     // 00000000A01C: 7E2A4115
	v_exp_f32_e32 v22, v22                                     // 00000000A020: 7E2C4116
	v_exp_f32_e32 v23, v23                                     // 00000000A024: 7E2E4117
	v_pk_fma_f32 v[24:25], v[24:25], s[46:47], v[196:197]      // 00000000A028: D3B04018 1F105D18
	v_pk_fma_f32 v[26:27], v[26:27], s[46:47], v[196:197]      // 00000000A030: D3B0401A 1F105D1A
	v_exp_f32_e32 v24, v24                                     // 00000000A038: 7E304118
	v_exp_f32_e32 v25, v25                                     // 00000000A03C: 7E324119
	v_exp_f32_e32 v26, v26                                     // 00000000A040: 7E34411A
	v_exp_f32_e32 v27, v27                                     // 00000000A044: 7E36411B
	v_pk_fma_f32 v[28:29], v[28:29], s[46:47], v[196:197]      // 00000000A048: D3B0401C 1F105D1C
	v_pk_fma_f32 v[30:31], v[30:31], s[46:47], v[196:197]      // 00000000A050: D3B0401E 1F105D1E
	v_exp_f32_e32 v28, v28                                     // 00000000A058: 7E38411C
	v_exp_f32_e32 v29, v29                                     // 00000000A05C: 7E3A411D
	v_exp_f32_e32 v30, v30                                     // 00000000A060: 7E3C411E
	v_exp_f32_e32 v31, v31                                     // 00000000A064: 7E3E411F
	v_pk_fma_f32 v[32:33], v[32:33], s[46:47], v[196:197]      // 00000000A068: D3B04020 1F105D20
	v_pk_fma_f32 v[34:35], v[34:35], s[46:47], v[196:197]      // 00000000A070: D3B04022 1F105D22
	v_exp_f32_e32 v32, v32                                     // 00000000A078: 7E404120
	v_exp_f32_e32 v33, v33                                     // 00000000A07C: 7E424121
	v_exp_f32_e32 v34, v34                                     // 00000000A080: 7E444122
	v_exp_f32_e32 v35, v35                                     // 00000000A084: 7E464123
	v_max_f32_e32 v158, v178, v154                             // 00000000A088: 173D35B2
	v_mul_f32_e64 v196, -s46, v158                             // 00000000A08C: D10500C4 20033C2E
	v_mov_b32_e32 v197, v196                                   // 00000000A094: 7F8A03C4
	v_pk_fma_f32 v[36:37], v[36:37], s[46:47], v[196:197]      // 00000000A098: D3B04024 1F105D24
	v_pk_fma_f32 v[38:39], v[38:39], s[46:47], v[196:197]      // 00000000A0A0: D3B04026 1F105D26
	v_exp_f32_e32 v36, v36                                     // 00000000A0A8: 7E484124
	v_exp_f32_e32 v37, v37                                     // 00000000A0AC: 7E4A4125
	v_exp_f32_e32 v38, v38                                     // 00000000A0B0: 7E4C4126
	v_exp_f32_e32 v39, v39                                     // 00000000A0B4: 7E4E4127
	v_pk_fma_f32 v[40:41], v[40:41], s[46:47], v[196:197]      // 00000000A0B8: D3B04028 1F105D28
	v_pk_fma_f32 v[42:43], v[42:43], s[46:47], v[196:197]      // 00000000A0C0: D3B0402A 1F105D2A
	v_exp_f32_e32 v40, v40                                     // 00000000A0C8: 7E504128
	v_exp_f32_e32 v41, v41                                     // 00000000A0CC: 7E524129
	v_exp_f32_e32 v42, v42                                     // 00000000A0D0: 7E54412A
	v_exp_f32_e32 v43, v43                                     // 00000000A0D4: 7E56412B
	v_pk_fma_f32 v[44:45], v[44:45], s[46:47], v[196:197]      // 00000000A0D8: D3B0402C 1F105D2C
	v_pk_fma_f32 v[46:47], v[46:47], s[46:47], v[196:197]      // 00000000A0E0: D3B0402E 1F105D2E
	v_exp_f32_e32 v44, v44                                     // 00000000A0E8: 7E58412C
	v_exp_f32_e32 v45, v45                                     // 00000000A0EC: 7E5A412D
	v_exp_f32_e32 v46, v46                                     // 00000000A0F0: 7E5C412E
	v_exp_f32_e32 v47, v47                                     // 00000000A0F4: 7E5E412F
	v_pk_fma_f32 v[48:49], v[48:49], s[46:47], v[196:197]      // 00000000A0F8: D3B04030 1F105D30
	v_pk_fma_f32 v[50:51], v[50:51], s[46:47], v[196:197]      // 00000000A100: D3B04032 1F105D32
	v_exp_f32_e32 v48, v48                                     // 00000000A108: 7E604130
	v_exp_f32_e32 v49, v49                                     // 00000000A10C: 7E624131
	v_exp_f32_e32 v50, v50                                     // 00000000A110: 7E644132
	v_exp_f32_e32 v51, v51                                     // 00000000A114: 7E664133
	v_max_f32_e32 v159, v179, v155                             // 00000000A118: 173F37B3
	v_mul_f32_e64 v196, -s46, v159                             // 00000000A11C: D10500C4 20033E2E
	v_mov_b32_e32 v197, v196                                   // 00000000A124: 7F8A03C4
	v_pk_fma_f32 v[52:53], v[52:53], s[46:47], v[196:197]      // 00000000A128: D3B04034 1F105D34
	v_pk_fma_f32 v[54:55], v[54:55], s[46:47], v[196:197]      // 00000000A130: D3B04036 1F105D36
	v_exp_f32_e32 v52, v52                                     // 00000000A138: 7E684134
	v_exp_f32_e32 v53, v53                                     // 00000000A13C: 7E6A4135
	v_exp_f32_e32 v54, v54                                     // 00000000A140: 7E6C4136
	v_exp_f32_e32 v55, v55                                     // 00000000A144: 7E6E4137
	v_pk_fma_f32 v[56:57], v[56:57], s[46:47], v[196:197]      // 00000000A148: D3B04038 1F105D38
	v_pk_fma_f32 v[58:59], v[58:59], s[46:47], v[196:197]      // 00000000A150: D3B0403A 1F105D3A
	v_exp_f32_e32 v56, v56                                     // 00000000A158: 7E704138
	v_exp_f32_e32 v57, v57                                     // 00000000A15C: 7E724139
	v_exp_f32_e32 v58, v58                                     // 00000000A160: 7E74413A
	v_exp_f32_e32 v59, v59                                     // 00000000A164: 7E76413B
	v_pk_fma_f32 v[60:61], v[60:61], s[46:47], v[196:197]      // 00000000A168: D3B0403C 1F105D3C
	v_pk_fma_f32 v[62:63], v[62:63], s[46:47], v[196:197]      // 00000000A170: D3B0403E 1F105D3E
	v_exp_f32_e32 v60, v60                                     // 00000000A178: 7E78413C
	v_exp_f32_e32 v61, v61                                     // 00000000A17C: 7E7A413D
	v_exp_f32_e32 v62, v62                                     // 00000000A180: 7E7C413E
	v_exp_f32_e32 v63, v63                                     // 00000000A184: 7E7E413F
	v_pk_fma_f32 v[64:65], v[64:65], s[46:47], v[196:197]      // 00000000A188: D3B04040 1F105D40
	v_pk_fma_f32 v[66:67], v[66:67], s[46:47], v[196:197]      // 00000000A190: D3B04042 1F105D42
	v_exp_f32_e32 v64, v64                                     // 00000000A198: 7E804140
	v_exp_f32_e32 v65, v65                                     // 00000000A19C: 7E824141
	v_exp_f32_e32 v66, v66                                     // 00000000A1A0: 7E844142
	v_exp_f32_e32 v67, v67                                     // 00000000A1A4: 7E864143
	v_sub_f32_e32 v160, v152, v156                             // 00000000A1A8: 05413998
	v_cmp_eq_u32_e64 s[98:99], v216, v152                      // 00000000A1AC: D0CA0062 000331D8
	v_cndmask_b32_e64 v160, v160, 0, s[98:99]                  // 00000000A1B4: D10000A0 018901A0
	v_mov_b32_e32 v152, v156                                   // 00000000A1BC: 7F30039C
	v_mul_f32_e32 v160, s46, v160                              // 00000000A1C0: 0B41402E
	v_exp_f32_e32 v160, v160                                   // 00000000A1C4: 7F4041A0
	v_sub_f32_e32 v162, v153, v157                             // 00000000A1C8: 05453B99
	v_cmp_eq_u32_e64 s[98:99], v216, v153                      // 00000000A1CC: D0CA0062 000333D8
	v_cndmask_b32_e64 v162, v162, 0, s[98:99]                  // 00000000A1D4: D10000A2 018901A2
	v_mov_b32_e32 v153, v157                                   // 00000000A1DC: 7F32039D
	v_mul_f32_e32 v162, s46, v162                              // 00000000A1E0: 0B45442E
	v_exp_f32_e32 v162, v162                                   // 00000000A1E4: 7F4441A2
	v_sub_f32_e32 v164, v154, v158                             // 00000000A1E8: 05493D9A
	v_cmp_eq_u32_e64 s[98:99], v216, v154                      // 00000000A1EC: D0CA0062 000335D8
	v_cndmask_b32_e64 v164, v164, 0, s[98:99]                  // 00000000A1F4: D10000A4 018901A4
	v_mov_b32_e32 v154, v158                                   // 00000000A1FC: 7F34039E
	v_mul_f32_e32 v164, s46, v164                              // 00000000A200: 0B49482E
	v_exp_f32_e32 v164, v164                                   // 00000000A204: 7F4841A4
	v_sub_f32_e32 v166, v155, v159                             // 00000000A208: 054D3F9B
	v_cmp_eq_u32_e64 s[98:99], v216, v155                      // 00000000A20C: D0CA0062 000337D8
	v_cndmask_b32_e64 v166, v166, 0, s[98:99]                  // 00000000A214: D10000A6 018901A6
	v_mov_b32_e32 v155, v159                                   // 00000000A21C: 7F36039F
	v_mul_f32_e32 v166, s46, v166                              // 00000000A220: 0B4D4C2E
	v_exp_f32_e32 v166, v166                                   // 00000000A224: 7F4C41A6
	v_mov_b32_e32 v161, v160                                   // 00000000A228: 7F4203A0
	v_mov_b32_e32 v163, v162                                   // 00000000A22C: 7F4603A2
	v_mov_b32_e32 v165, v164                                   // 00000000A230: 7F4A03A4
	v_mov_b32_e32 v167, v166                                   // 00000000A234: 7F4E03A6
	v_mul_f32_e32 v168, v160, v168                             // 00000000A238: 0B5151A0
	v_mov_b32_e32 v169, 0                                      // 00000000A23C: 7F520280
	v_pk_add_f32 v[168:169], v[4:5], v[168:169]                // 00000000A240: D3B240A8 18035104
	v_pk_add_f32 v[168:169], v[6:7], v[168:169]                // 00000000A248: D3B240A8 18035106
	v_pk_add_f32 v[168:169], v[8:9], v[168:169]                // 00000000A250: D3B240A8 18035108
	v_pk_add_f32 v[168:169], v[10:11], v[168:169]              // 00000000A258: D3B240A8 1803510A
	v_pk_add_f32 v[168:169], v[12:13], v[168:169]              // 00000000A260: D3B240A8 1803510C
	v_pk_add_f32 v[168:169], v[14:15], v[168:169]              // 00000000A268: D3B240A8 1803510E
	v_pk_add_f32 v[168:169], v[16:17], v[168:169]              // 00000000A270: D3B240A8 18035110
	v_pk_add_f32 v[168:169], v[18:19], v[168:169]              // 00000000A278: D3B240A8 18035112
	v_add_f32_e32 v168, v169, v168                             // 00000000A280: 035151A9
	v_mul_f32_e32 v170, v162, v170                             // 00000000A284: 0B5555A2
	v_mov_b32_e32 v171, 0                                      // 00000000A288: 7F560280
	v_pk_add_f32 v[170:171], v[20:21], v[170:171]              // 00000000A28C: D3B240AA 18035514
	v_pk_add_f32 v[170:171], v[22:23], v[170:171]              // 00000000A294: D3B240AA 18035516
	v_pk_add_f32 v[170:171], v[24:25], v[170:171]              // 00000000A29C: D3B240AA 18035518
	v_pk_add_f32 v[170:171], v[26:27], v[170:171]              // 00000000A2A4: D3B240AA 1803551A
	v_pk_add_f32 v[170:171], v[28:29], v[170:171]              // 00000000A2AC: D3B240AA 1803551C
	v_pk_add_f32 v[170:171], v[30:31], v[170:171]              // 00000000A2B4: D3B240AA 1803551E
	v_pk_add_f32 v[170:171], v[32:33], v[170:171]              // 00000000A2BC: D3B240AA 18035520
	v_pk_add_f32 v[170:171], v[34:35], v[170:171]              // 00000000A2C4: D3B240AA 18035522
	v_add_f32_e32 v170, v171, v170                             // 00000000A2CC: 035555AB
	v_mul_f32_e32 v172, v164, v172                             // 00000000A2D0: 0B5959A4
	v_mov_b32_e32 v173, 0                                      // 00000000A2D4: 7F5A0280
	v_pk_add_f32 v[172:173], v[36:37], v[172:173]              // 00000000A2D8: D3B240AC 18035924
	v_pk_add_f32 v[172:173], v[38:39], v[172:173]              // 00000000A2E0: D3B240AC 18035926
	v_pk_add_f32 v[172:173], v[40:41], v[172:173]              // 00000000A2E8: D3B240AC 18035928
	v_pk_add_f32 v[172:173], v[42:43], v[172:173]              // 00000000A2F0: D3B240AC 1803592A
	v_pk_add_f32 v[172:173], v[44:45], v[172:173]              // 00000000A2F8: D3B240AC 1803592C
	v_pk_add_f32 v[172:173], v[46:47], v[172:173]              // 00000000A300: D3B240AC 1803592E
	v_pk_add_f32 v[172:173], v[48:49], v[172:173]              // 00000000A308: D3B240AC 18035930
	v_pk_add_f32 v[172:173], v[50:51], v[172:173]              // 00000000A310: D3B240AC 18035932
	v_add_f32_e32 v172, v173, v172                             // 00000000A318: 035959AD
	v_mul_f32_e32 v174, v166, v174                             // 00000000A31C: 0B5D5DA6
	v_mov_b32_e32 v175, 0                                      // 00000000A320: 7F5E0280
	v_pk_add_f32 v[174:175], v[52:53], v[174:175]              // 00000000A324: D3B240AE 18035D34
	v_pk_add_f32 v[174:175], v[54:55], v[174:175]              // 00000000A32C: D3B240AE 18035D36
	v_pk_add_f32 v[174:175], v[56:57], v[174:175]              // 00000000A334: D3B240AE 18035D38
	v_pk_add_f32 v[174:175], v[58:59], v[174:175]              // 00000000A33C: D3B240AE 18035D3A
	v_pk_add_f32 v[174:175], v[60:61], v[174:175]              // 00000000A344: D3B240AE 18035D3C
	v_pk_add_f32 v[174:175], v[62:63], v[174:175]              // 00000000A34C: D3B240AE 18035D3E
	v_pk_add_f32 v[174:175], v[64:65], v[174:175]              // 00000000A354: D3B240AE 18035D40
	v_pk_add_f32 v[174:175], v[66:67], v[174:175]              // 00000000A35C: D3B240AE 18035D42
	v_add_f32_e32 v174, v175, v174                             // 00000000A364: 035D5DAF
	v_mul_f32_dpp v4, v142, v4 row_newbcast:0 row_mask:0xf bank_mask:0xf// 00000000A368: 0A0808FA FF01508E
	v_mul_f32_dpp v5, v142, v5 row_newbcast:1 row_mask:0xf bank_mask:0xf// 00000000A370: 0A0A0AFA FF01518E
	v_mul_f32_dpp v6, v142, v6 row_newbcast:2 row_mask:0xf bank_mask:0xf// 00000000A378: 0A0C0CFA FF01528E
	v_mul_f32_dpp v7, v142, v7 row_newbcast:3 row_mask:0xf bank_mask:0xf// 00000000A380: 0A0E0EFA FF01538E
	v_mul_f32_dpp v8, v142, v8 row_newbcast:4 row_mask:0xf bank_mask:0xf// 00000000A388: 0A1010FA FF01548E
	v_mul_f32_dpp v9, v142, v9 row_newbcast:5 row_mask:0xf bank_mask:0xf// 00000000A390: 0A1212FA FF01558E
	v_mul_f32_dpp v10, v142, v10 row_newbcast:6 row_mask:0xf bank_mask:0xf// 00000000A398: 0A1414FA FF01568E
	v_mul_f32_dpp v11, v142, v11 row_newbcast:7 row_mask:0xf bank_mask:0xf// 00000000A3A0: 0A1616FA FF01578E
	v_mul_f32_dpp v12, v142, v12 row_newbcast:8 row_mask:0xf bank_mask:0xf// 00000000A3A8: 0A1818FA FF01588E
	v_mul_f32_dpp v13, v142, v13 row_newbcast:9 row_mask:0xf bank_mask:0xf// 00000000A3B0: 0A1A1AFA FF01598E
	v_mul_f32_dpp v14, v142, v14 row_newbcast:10 row_mask:0xf bank_mask:0xf// 00000000A3B8: 0A1C1CFA FF015A8E
	v_mul_f32_dpp v15, v142, v15 row_newbcast:11 row_mask:0xf bank_mask:0xf// 00000000A3C0: 0A1E1EFA FF015B8E
	v_mul_f32_dpp v16, v142, v16 row_newbcast:12 row_mask:0xf bank_mask:0xf// 00000000A3C8: 0A2020FA FF015C8E
	v_mul_f32_dpp v17, v142, v17 row_newbcast:13 row_mask:0xf bank_mask:0xf// 00000000A3D0: 0A2222FA FF015D8E
	v_mul_f32_dpp v18, v142, v18 row_newbcast:14 row_mask:0xf bank_mask:0xf// 00000000A3D8: 0A2424FA FF015E8E
	v_mul_f32_dpp v19, v142, v19 row_newbcast:15 row_mask:0xf bank_mask:0xf// 00000000A3E0: 0A2626FA FF015F8E
	v_mul_f32_dpp v20, v142, v20 row_newbcast:0 row_mask:0xf bank_mask:0xf// 00000000A3E8: 0A2828FA FF01508E
	v_mul_f32_dpp v21, v142, v21 row_newbcast:1 row_mask:0xf bank_mask:0xf// 00000000A3F0: 0A2A2AFA FF01518E
	v_mul_f32_dpp v22, v142, v22 row_newbcast:2 row_mask:0xf bank_mask:0xf// 00000000A3F8: 0A2C2CFA FF01528E
	v_mul_f32_dpp v23, v142, v23 row_newbcast:3 row_mask:0xf bank_mask:0xf// 00000000A400: 0A2E2EFA FF01538E
	v_mul_f32_dpp v24, v142, v24 row_newbcast:4 row_mask:0xf bank_mask:0xf// 00000000A408: 0A3030FA FF01548E
	v_mul_f32_dpp v25, v142, v25 row_newbcast:5 row_mask:0xf bank_mask:0xf// 00000000A410: 0A3232FA FF01558E
	v_mul_f32_dpp v26, v142, v26 row_newbcast:6 row_mask:0xf bank_mask:0xf// 00000000A418: 0A3434FA FF01568E
	v_mul_f32_dpp v27, v142, v27 row_newbcast:7 row_mask:0xf bank_mask:0xf// 00000000A420: 0A3636FA FF01578E
	v_mul_f32_dpp v28, v142, v28 row_newbcast:8 row_mask:0xf bank_mask:0xf// 00000000A428: 0A3838FA FF01588E
	v_mul_f32_dpp v29, v142, v29 row_newbcast:9 row_mask:0xf bank_mask:0xf// 00000000A430: 0A3A3AFA FF01598E
	v_mul_f32_dpp v30, v142, v30 row_newbcast:10 row_mask:0xf bank_mask:0xf// 00000000A438: 0A3C3CFA FF015A8E
	v_mul_f32_dpp v31, v142, v31 row_newbcast:11 row_mask:0xf bank_mask:0xf// 00000000A440: 0A3E3EFA FF015B8E
	v_mul_f32_dpp v32, v142, v32 row_newbcast:12 row_mask:0xf bank_mask:0xf// 00000000A448: 0A4040FA FF015C8E
	v_mul_f32_dpp v33, v142, v33 row_newbcast:13 row_mask:0xf bank_mask:0xf// 00000000A450: 0A4242FA FF015D8E
	v_mul_f32_dpp v34, v142, v34 row_newbcast:14 row_mask:0xf bank_mask:0xf// 00000000A458: 0A4444FA FF015E8E
	v_mul_f32_dpp v35, v142, v35 row_newbcast:15 row_mask:0xf bank_mask:0xf// 00000000A460: 0A4646FA FF015F8E
	v_mul_f32_dpp v36, v142, v36 row_newbcast:0 row_mask:0xf bank_mask:0xf// 00000000A468: 0A4848FA FF01508E
	v_mul_f32_dpp v37, v142, v37 row_newbcast:1 row_mask:0xf bank_mask:0xf// 00000000A470: 0A4A4AFA FF01518E
	v_mul_f32_dpp v38, v142, v38 row_newbcast:2 row_mask:0xf bank_mask:0xf// 00000000A478: 0A4C4CFA FF01528E
	v_mul_f32_dpp v39, v142, v39 row_newbcast:3 row_mask:0xf bank_mask:0xf// 00000000A480: 0A4E4EFA FF01538E
	v_mul_f32_dpp v40, v142, v40 row_newbcast:4 row_mask:0xf bank_mask:0xf// 00000000A488: 0A5050FA FF01548E
	v_mul_f32_dpp v41, v142, v41 row_newbcast:5 row_mask:0xf bank_mask:0xf// 00000000A490: 0A5252FA FF01558E
	v_mul_f32_dpp v42, v142, v42 row_newbcast:6 row_mask:0xf bank_mask:0xf// 00000000A498: 0A5454FA FF01568E
	v_mul_f32_dpp v43, v142, v43 row_newbcast:7 row_mask:0xf bank_mask:0xf// 00000000A4A0: 0A5656FA FF01578E
	v_mul_f32_dpp v44, v142, v44 row_newbcast:8 row_mask:0xf bank_mask:0xf// 00000000A4A8: 0A5858FA FF01588E
	v_mul_f32_dpp v45, v142, v45 row_newbcast:9 row_mask:0xf bank_mask:0xf// 00000000A4B0: 0A5A5AFA FF01598E
	v_mul_f32_dpp v46, v142, v46 row_newbcast:10 row_mask:0xf bank_mask:0xf// 00000000A4B8: 0A5C5CFA FF015A8E
	v_mul_f32_dpp v47, v142, v47 row_newbcast:11 row_mask:0xf bank_mask:0xf// 00000000A4C0: 0A5E5EFA FF015B8E
	v_mul_f32_dpp v48, v142, v48 row_newbcast:12 row_mask:0xf bank_mask:0xf// 00000000A4C8: 0A6060FA FF015C8E
	v_mul_f32_dpp v49, v142, v49 row_newbcast:13 row_mask:0xf bank_mask:0xf// 00000000A4D0: 0A6262FA FF015D8E
	v_mul_f32_dpp v50, v142, v50 row_newbcast:14 row_mask:0xf bank_mask:0xf// 00000000A4D8: 0A6464FA FF015E8E
	v_mul_f32_dpp v51, v142, v51 row_newbcast:15 row_mask:0xf bank_mask:0xf// 00000000A4E0: 0A6666FA FF015F8E
	v_mul_f32_dpp v52, v142, v52 row_newbcast:0 row_mask:0xf bank_mask:0xf// 00000000A4E8: 0A6868FA FF01508E
	v_mul_f32_dpp v53, v142, v53 row_newbcast:1 row_mask:0xf bank_mask:0xf// 00000000A4F0: 0A6A6AFA FF01518E
	v_mul_f32_dpp v54, v142, v54 row_newbcast:2 row_mask:0xf bank_mask:0xf// 00000000A4F8: 0A6C6CFA FF01528E
	v_mul_f32_dpp v55, v142, v55 row_newbcast:3 row_mask:0xf bank_mask:0xf// 00000000A500: 0A6E6EFA FF01538E
	v_mul_f32_dpp v56, v142, v56 row_newbcast:4 row_mask:0xf bank_mask:0xf// 00000000A508: 0A7070FA FF01548E
	v_mul_f32_dpp v57, v142, v57 row_newbcast:5 row_mask:0xf bank_mask:0xf// 00000000A510: 0A7272FA FF01558E
	v_mul_f32_dpp v58, v142, v58 row_newbcast:6 row_mask:0xf bank_mask:0xf// 00000000A518: 0A7474FA FF01568E
	v_mul_f32_dpp v59, v142, v59 row_newbcast:7 row_mask:0xf bank_mask:0xf// 00000000A520: 0A7676FA FF01578E
	v_mul_f32_dpp v60, v142, v60 row_newbcast:8 row_mask:0xf bank_mask:0xf// 00000000A528: 0A7878FA FF01588E
	v_mul_f32_dpp v61, v142, v61 row_newbcast:9 row_mask:0xf bank_mask:0xf// 00000000A530: 0A7A7AFA FF01598E
	v_mul_f32_dpp v62, v142, v62 row_newbcast:10 row_mask:0xf bank_mask:0xf// 00000000A538: 0A7C7CFA FF015A8E
	v_mul_f32_dpp v63, v142, v63 row_newbcast:11 row_mask:0xf bank_mask:0xf// 00000000A540: 0A7E7EFA FF015B8E
	v_mul_f32_dpp v64, v142, v64 row_newbcast:12 row_mask:0xf bank_mask:0xf// 00000000A548: 0A8080FA FF015C8E
	v_mul_f32_dpp v65, v142, v65 row_newbcast:13 row_mask:0xf bank_mask:0xf// 00000000A550: 0A8282FA FF015D8E
	v_mul_f32_dpp v66, v142, v66 row_newbcast:14 row_mask:0xf bank_mask:0xf// 00000000A558: 0A8484FA FF015E8E
	v_mul_f32_dpp v67, v142, v67 row_newbcast:15 row_mask:0xf bank_mask:0xf// 00000000A560: 0A8686FA FF015F8E
	v_add_u32_e32 v196, s64, v215                              // 00000000A568: 6989AE40
	v_add_u32_e32 v197, 0, v196                                // 00000000A56C: 698B8880
	v_cmp_lt_u32_e32 vcc, v197, v211                           // 00000000A570: 7D93A7C5
	v_cndmask_b32_e32 v4, 0, v4, vcc                           // 00000000A574: 00080880
	v_cmp_lt_u32_e32 vcc, v197, v212                           // 00000000A578: 7D93A9C5
	v_cndmask_b32_e32 v20, 0, v20, vcc                         // 00000000A57C: 00282880
	v_cmp_lt_u32_e32 vcc, v197, v213                           // 00000000A580: 7D93ABC5
	v_cndmask_b32_e32 v36, 0, v36, vcc                         // 00000000A584: 00484880
	v_cmp_lt_u32_e32 vcc, v197, v214                           // 00000000A588: 7D93ADC5
	v_cndmask_b32_e32 v52, 0, v52, vcc                         // 00000000A58C: 00686880
	v_add_u32_e32 v197, 1, v196                                // 00000000A590: 698B8881
	v_cmp_lt_u32_e32 vcc, v197, v211                           // 00000000A594: 7D93A7C5
	v_cndmask_b32_e32 v5, 0, v5, vcc                           // 00000000A598: 000A0A80
	v_cmp_lt_u32_e32 vcc, v197, v212                           // 00000000A59C: 7D93A9C5
	v_cndmask_b32_e32 v21, 0, v21, vcc                         // 00000000A5A0: 002A2A80
	v_cmp_lt_u32_e32 vcc, v197, v213                           // 00000000A5A4: 7D93ABC5
	v_cndmask_b32_e32 v37, 0, v37, vcc                         // 00000000A5A8: 004A4A80
	v_cmp_lt_u32_e32 vcc, v197, v214                           // 00000000A5AC: 7D93ADC5
	v_cndmask_b32_e32 v53, 0, v53, vcc                         // 00000000A5B0: 006A6A80
	v_add_u32_e32 v197, 2, v196                                // 00000000A5B4: 698B8882
	v_cmp_lt_u32_e32 vcc, v197, v211                           // 00000000A5B8: 7D93A7C5
	v_cndmask_b32_e32 v6, 0, v6, vcc                           // 00000000A5BC: 000C0C80
	v_cmp_lt_u32_e32 vcc, v197, v212                           // 00000000A5C0: 7D93A9C5
	v_cndmask_b32_e32 v22, 0, v22, vcc                         // 00000000A5C4: 002C2C80
	v_cmp_lt_u32_e32 vcc, v197, v213                           // 00000000A5C8: 7D93ABC5
	v_cndmask_b32_e32 v38, 0, v38, vcc                         // 00000000A5CC: 004C4C80
	v_cmp_lt_u32_e32 vcc, v197, v214                           // 00000000A5D0: 7D93ADC5
	v_cndmask_b32_e32 v54, 0, v54, vcc                         // 00000000A5D4: 006C6C80
	v_add_u32_e32 v197, 3, v196                                // 00000000A5D8: 698B8883
	v_cmp_lt_u32_e32 vcc, v197, v211                           // 00000000A5DC: 7D93A7C5
	v_cndmask_b32_e32 v7, 0, v7, vcc                           // 00000000A5E0: 000E0E80
	v_cmp_lt_u32_e32 vcc, v197, v212                           // 00000000A5E4: 7D93A9C5
	v_cndmask_b32_e32 v23, 0, v23, vcc                         // 00000000A5E8: 002E2E80
	v_cmp_lt_u32_e32 vcc, v197, v213                           // 00000000A5EC: 7D93ABC5
	v_cndmask_b32_e32 v39, 0, v39, vcc                         // 00000000A5F0: 004E4E80
	v_cmp_lt_u32_e32 vcc, v197, v214                           // 00000000A5F4: 7D93ADC5
	v_cndmask_b32_e32 v55, 0, v55, vcc                         // 00000000A5F8: 006E6E80
	v_add_u32_e32 v197, 64, v196                               // 00000000A5FC: 698B88C0
	v_cmp_lt_u32_e32 vcc, v197, v211                           // 00000000A600: 7D93A7C5
	v_cndmask_b32_e32 v8, 0, v8, vcc                           // 00000000A604: 00101080
	v_cmp_lt_u32_e32 vcc, v197, v212                           // 00000000A608: 7D93A9C5
	v_cndmask_b32_e32 v24, 0, v24, vcc                         // 00000000A60C: 00303080
	v_cmp_lt_u32_e32 vcc, v197, v213                           // 00000000A610: 7D93ABC5
	v_cndmask_b32_e32 v40, 0, v40, vcc                         // 00000000A614: 00505080
	v_cmp_lt_u32_e32 vcc, v197, v214                           // 00000000A618: 7D93ADC5
	v_cndmask_b32_e32 v56, 0, v56, vcc                         // 00000000A61C: 00707080
	v_add_u32_e32 v197, 0x41, v196                             // 00000000A620: 698B88FF 00000041
	v_cmp_lt_u32_e32 vcc, v197, v211                           // 00000000A628: 7D93A7C5
	v_cndmask_b32_e32 v9, 0, v9, vcc                           // 00000000A62C: 00121280
	v_cmp_lt_u32_e32 vcc, v197, v212                           // 00000000A630: 7D93A9C5
	v_cndmask_b32_e32 v25, 0, v25, vcc                         // 00000000A634: 00323280
	v_cmp_lt_u32_e32 vcc, v197, v213                           // 00000000A638: 7D93ABC5
	v_cndmask_b32_e32 v41, 0, v41, vcc                         // 00000000A63C: 00525280
	v_cmp_lt_u32_e32 vcc, v197, v214                           // 00000000A640: 7D93ADC5
	v_cndmask_b32_e32 v57, 0, v57, vcc                         // 00000000A644: 00727280
	v_add_u32_e32 v197, 0x42, v196                             // 00000000A648: 698B88FF 00000042
	v_cmp_lt_u32_e32 vcc, v197, v211                           // 00000000A650: 7D93A7C5
	v_cndmask_b32_e32 v10, 0, v10, vcc                         // 00000000A654: 00141480
	v_cmp_lt_u32_e32 vcc, v197, v212                           // 00000000A658: 7D93A9C5
	v_cndmask_b32_e32 v26, 0, v26, vcc                         // 00000000A65C: 00343480
	v_cmp_lt_u32_e32 vcc, v197, v213                           // 00000000A660: 7D93ABC5
	v_cndmask_b32_e32 v42, 0, v42, vcc                         // 00000000A664: 00545480
	v_cmp_lt_u32_e32 vcc, v197, v214                           // 00000000A668: 7D93ADC5
	v_cndmask_b32_e32 v58, 0, v58, vcc                         // 00000000A66C: 00747480
	v_add_u32_e32 v197, 0x43, v196                             // 00000000A670: 698B88FF 00000043
	v_cmp_lt_u32_e32 vcc, v197, v211                           // 00000000A678: 7D93A7C5
	v_cndmask_b32_e32 v11, 0, v11, vcc                         // 00000000A67C: 00161680
	v_cmp_lt_u32_e32 vcc, v197, v212                           // 00000000A680: 7D93A9C5
	v_cndmask_b32_e32 v27, 0, v27, vcc                         // 00000000A684: 00363680
	v_cmp_lt_u32_e32 vcc, v197, v213                           // 00000000A688: 7D93ABC5
	v_cndmask_b32_e32 v43, 0, v43, vcc                         // 00000000A68C: 00565680
	v_cmp_lt_u32_e32 vcc, v197, v214                           // 00000000A690: 7D93ADC5
	v_cndmask_b32_e32 v59, 0, v59, vcc                         // 00000000A694: 00767680
	v_add_u32_e32 v197, 0x80, v196                             // 00000000A698: 698B88FF 00000080
	v_cmp_lt_u32_e32 vcc, v197, v211                           // 00000000A6A0: 7D93A7C5
	v_cndmask_b32_e32 v12, 0, v12, vcc                         // 00000000A6A4: 00181880
	v_cmp_lt_u32_e32 vcc, v197, v212                           // 00000000A6A8: 7D93A9C5
	v_cndmask_b32_e32 v28, 0, v28, vcc                         // 00000000A6AC: 00383880
	v_cmp_lt_u32_e32 vcc, v197, v213                           // 00000000A6B0: 7D93ABC5
	v_cndmask_b32_e32 v44, 0, v44, vcc                         // 00000000A6B4: 00585880
	v_cmp_lt_u32_e32 vcc, v197, v214                           // 00000000A6B8: 7D93ADC5
	v_cndmask_b32_e32 v60, 0, v60, vcc                         // 00000000A6BC: 00787880
	v_add_u32_e32 v197, 0x81, v196                             // 00000000A6C0: 698B88FF 00000081
	v_cmp_lt_u32_e32 vcc, v197, v211                           // 00000000A6C8: 7D93A7C5
	v_cndmask_b32_e32 v13, 0, v13, vcc                         // 00000000A6CC: 001A1A80
	v_cmp_lt_u32_e32 vcc, v197, v212                           // 00000000A6D0: 7D93A9C5
	v_cndmask_b32_e32 v29, 0, v29, vcc                         // 00000000A6D4: 003A3A80
	v_cmp_lt_u32_e32 vcc, v197, v213                           // 00000000A6D8: 7D93ABC5
	v_cndmask_b32_e32 v45, 0, v45, vcc                         // 00000000A6DC: 005A5A80
	v_cmp_lt_u32_e32 vcc, v197, v214                           // 00000000A6E0: 7D93ADC5
	v_cndmask_b32_e32 v61, 0, v61, vcc                         // 00000000A6E4: 007A7A80
	v_add_u32_e32 v197, 0x82, v196                             // 00000000A6E8: 698B88FF 00000082
	v_cmp_lt_u32_e32 vcc, v197, v211                           // 00000000A6F0: 7D93A7C5
	v_cndmask_b32_e32 v14, 0, v14, vcc                         // 00000000A6F4: 001C1C80
	v_cmp_lt_u32_e32 vcc, v197, v212                           // 00000000A6F8: 7D93A9C5
	v_cndmask_b32_e32 v30, 0, v30, vcc                         // 00000000A6FC: 003C3C80
	v_cmp_lt_u32_e32 vcc, v197, v213                           // 00000000A700: 7D93ABC5
	v_cndmask_b32_e32 v46, 0, v46, vcc                         // 00000000A704: 005C5C80
	v_cmp_lt_u32_e32 vcc, v197, v214                           // 00000000A708: 7D93ADC5
	v_cndmask_b32_e32 v62, 0, v62, vcc                         // 00000000A70C: 007C7C80
	v_add_u32_e32 v197, 0x83, v196                             // 00000000A710: 698B88FF 00000083
	v_cmp_lt_u32_e32 vcc, v197, v211                           // 00000000A718: 7D93A7C5
	v_cndmask_b32_e32 v15, 0, v15, vcc                         // 00000000A71C: 001E1E80
	v_cmp_lt_u32_e32 vcc, v197, v212                           // 00000000A720: 7D93A9C5
	v_cndmask_b32_e32 v31, 0, v31, vcc                         // 00000000A724: 003E3E80
	v_cmp_lt_u32_e32 vcc, v197, v213                           // 00000000A728: 7D93ABC5
	v_cndmask_b32_e32 v47, 0, v47, vcc                         // 00000000A72C: 005E5E80
	v_cmp_lt_u32_e32 vcc, v197, v214                           // 00000000A730: 7D93ADC5
	v_cndmask_b32_e32 v63, 0, v63, vcc                         // 00000000A734: 007E7E80
	v_add_u32_e32 v197, 0xc0, v196                             // 00000000A738: 698B88FF 000000C0
	v_cmp_lt_u32_e32 vcc, v197, v211                           // 00000000A740: 7D93A7C5
	v_cndmask_b32_e32 v16, 0, v16, vcc                         // 00000000A744: 00202080
	v_cmp_lt_u32_e32 vcc, v197, v212                           // 00000000A748: 7D93A9C5
	v_cndmask_b32_e32 v32, 0, v32, vcc                         // 00000000A74C: 00404080
	v_cmp_lt_u32_e32 vcc, v197, v213                           // 00000000A750: 7D93ABC5
	v_cndmask_b32_e32 v48, 0, v48, vcc                         // 00000000A754: 00606080
	v_cmp_lt_u32_e32 vcc, v197, v214                           // 00000000A758: 7D93ADC5
	v_cndmask_b32_e32 v64, 0, v64, vcc                         // 00000000A75C: 00808080
	v_add_u32_e32 v197, 0xc1, v196                             // 00000000A760: 698B88FF 000000C1
	v_cmp_lt_u32_e32 vcc, v197, v211                           // 00000000A768: 7D93A7C5
	v_cndmask_b32_e32 v17, 0, v17, vcc                         // 00000000A76C: 00222280
	v_cmp_lt_u32_e32 vcc, v197, v212                           // 00000000A770: 7D93A9C5
	v_cndmask_b32_e32 v33, 0, v33, vcc                         // 00000000A774: 00424280
	v_cmp_lt_u32_e32 vcc, v197, v213                           // 00000000A778: 7D93ABC5
	v_cndmask_b32_e32 v49, 0, v49, vcc                         // 00000000A77C: 00626280
	v_cmp_lt_u32_e32 vcc, v197, v214                           // 00000000A780: 7D93ADC5
	v_cndmask_b32_e32 v65, 0, v65, vcc                         // 00000000A784: 00828280
	v_add_u32_e32 v197, 0xc2, v196                             // 00000000A788: 698B88FF 000000C2
	v_cmp_lt_u32_e32 vcc, v197, v211                           // 00000000A790: 7D93A7C5
	v_cndmask_b32_e32 v18, 0, v18, vcc                         // 00000000A794: 00242480
	v_cmp_lt_u32_e32 vcc, v197, v212                           // 00000000A798: 7D93A9C5
	v_cndmask_b32_e32 v34, 0, v34, vcc                         // 00000000A79C: 00444480
	v_cmp_lt_u32_e32 vcc, v197, v213                           // 00000000A7A0: 7D93ABC5
	v_cndmask_b32_e32 v50, 0, v50, vcc                         // 00000000A7A4: 00646480
	v_cmp_lt_u32_e32 vcc, v197, v214                           // 00000000A7A8: 7D93ADC5
	v_cndmask_b32_e32 v66, 0, v66, vcc                         // 00000000A7AC: 00848480
	v_add_u32_e32 v197, 0xc3, v196                             // 00000000A7B0: 698B88FF 000000C3
	v_cmp_lt_u32_e32 vcc, v197, v211                           // 00000000A7B8: 7D93A7C5
	v_cndmask_b32_e32 v19, 0, v19, vcc                         // 00000000A7BC: 00262680
	v_cmp_lt_u32_e32 vcc, v197, v212                           // 00000000A7C0: 7D93A9C5
	v_cndmask_b32_e32 v35, 0, v35, vcc                         // 00000000A7C4: 00464680
	v_cmp_lt_u32_e32 vcc, v197, v213                           // 00000000A7C8: 7D93ABC5
	v_cndmask_b32_e32 v51, 0, v51, vcc                         // 00000000A7CC: 00666680
	v_cmp_lt_u32_e32 vcc, v197, v214                           // 00000000A7D0: 7D93ADC5
	v_cndmask_b32_e32 v67, 0, v67, vcc                         // 00000000A7D4: 00868680
	buffer_load_dword v141, v231, s[20:23], 0 offen            // 00000000A7D8: E0501000 80058DE7
	s_waitcnt lgkmcnt(0)                                       // 00000000A7E0: BF8CC07F
	s_barrier                                                  // 00000000A7E4: BF8A0000
	buffer_load_dword v143, v232, s[24:27], 0 offen            // 00000000A7E8: E0501000 80068FE8
	s_waitcnt lgkmcnt(0)                                       // 00000000A7F0: BF8CC07F
	v_sub_f32_e32 v176, v176, v152                             // 00000000A7F4: 056131B0
	v_sub_f32_e32 v177, v177, v153                             // 00000000A7F8: 056333B1
	v_sub_f32_e32 v178, v178, v154                             // 00000000A7FC: 056535B2
	v_sub_f32_e32 v179, v179, v155                             // 00000000A800: 056737B3
	v_mul_f32_e32 v176, s46, v176                              // 00000000A804: 0B61602E
	v_mul_f32_e32 v177, s46, v177                              // 00000000A808: 0B63622E
	v_mul_f32_e32 v178, s46, v178                              // 00000000A80C: 0B65642E
	v_mul_f32_e32 v179, s46, v179                              // 00000000A810: 0B67662E
	v_exp_f32_e32 v176, v176                                   // 00000000A814: 7F6041B0
	v_exp_f32_e32 v177, v177                                   // 00000000A818: 7F6241B1
	v_exp_f32_e32 v178, v178                                   // 00000000A81C: 7F6441B2
	v_exp_f32_e32 v179, v179                                   // 00000000A820: 7F6641B3
	v_mul_f32_e32 v176, v142, v176                             // 00000000A824: 0B61618E
	v_mul_f32_e32 v177, v142, v177                             // 00000000A828: 0B63638E
	v_mul_f32_e32 v178, v142, v178                             // 00000000A82C: 0B65658E
	v_mul_f32_e32 v179, v142, v179                             // 00000000A830: 0B67678E
	v_add_f32_e32 v176, 0x3089705f, v176                       // 00000000A834: 036160FF 3089705F
	v_add_f32_e32 v177, 0x3089705f, v177                       // 00000000A83C: 036362FF 3089705F
	v_add_f32_e32 v178, 0x3089705f, v178                       // 00000000A844: 036564FF 3089705F
	v_add_f32_e32 v179, 0x3089705f, v179                       // 00000000A84C: 036766FF 3089705F
	v_rcp_f32_e32 v176, v176                                   // 00000000A854: 7F6045B0
	v_rcp_f32_e32 v177, v177                                   // 00000000A858: 7F6245B1
	v_rcp_f32_e32 v178, v178                                   // 00000000A85C: 7F6445B2
	v_rcp_f32_e32 v179, v179                                   // 00000000A860: 7F6645B3
	v_mul_f32_e32 v176, 0x43700000, v176                       // 00000000A864: 0B6160FF 43700000
	v_mul_f32_e32 v177, 0x43700000, v177                       // 00000000A86C: 0B6362FF 43700000
	v_mul_f32_e32 v178, 0x43700000, v178                       // 00000000A874: 0B6564FF 43700000
	v_mul_f32_e32 v179, 0x43700000, v179                       // 00000000A87C: 0B6766FF 43700000
	v_mul_f32_e32 v4, v176, v4                                 // 00000000A884: 0A0809B0
	v_mul_f32_e32 v5, v176, v5                                 // 00000000A888: 0A0A0BB0
	v_mul_f32_e32 v6, v176, v6                                 // 00000000A88C: 0A0C0DB0
	v_mul_f32_e32 v7, v176, v7                                 // 00000000A890: 0A0E0FB0
	v_mul_f32_e32 v8, v176, v8                                 // 00000000A894: 0A1011B0
	v_mul_f32_e32 v9, v176, v9                                 // 00000000A898: 0A1213B0
	v_mul_f32_e32 v10, v176, v10                               // 00000000A89C: 0A1415B0
	v_mul_f32_e32 v11, v176, v11                               // 00000000A8A0: 0A1617B0
	v_mul_f32_e32 v12, v176, v12                               // 00000000A8A4: 0A1819B0
	v_mul_f32_e32 v13, v176, v13                               // 00000000A8A8: 0A1A1BB0
	v_mul_f32_e32 v14, v176, v14                               // 00000000A8AC: 0A1C1DB0
	v_mul_f32_e32 v15, v176, v15                               // 00000000A8B0: 0A1E1FB0
	v_mul_f32_e32 v16, v176, v16                               // 00000000A8B4: 0A2021B0
	v_mul_f32_e32 v17, v176, v17                               // 00000000A8B8: 0A2223B0
	v_mul_f32_e32 v18, v176, v18                               // 00000000A8BC: 0A2425B0
	v_mul_f32_e32 v19, v176, v19                               // 00000000A8C0: 0A2627B0
	v_mul_f32_e32 v20, v177, v20                               // 00000000A8C4: 0A2829B1
	v_mul_f32_e32 v21, v177, v21                               // 00000000A8C8: 0A2A2BB1
	v_mul_f32_e32 v22, v177, v22                               // 00000000A8CC: 0A2C2DB1
	v_mul_f32_e32 v23, v177, v23                               // 00000000A8D0: 0A2E2FB1
	v_mul_f32_e32 v24, v177, v24                               // 00000000A8D4: 0A3031B1
	v_mul_f32_e32 v25, v177, v25                               // 00000000A8D8: 0A3233B1
	v_mul_f32_e32 v26, v177, v26                               // 00000000A8DC: 0A3435B1
	v_mul_f32_e32 v27, v177, v27                               // 00000000A8E0: 0A3637B1
	v_mul_f32_e32 v28, v177, v28                               // 00000000A8E4: 0A3839B1
	v_mul_f32_e32 v29, v177, v29                               // 00000000A8E8: 0A3A3BB1
	v_mul_f32_e32 v30, v177, v30                               // 00000000A8EC: 0A3C3DB1
	v_mul_f32_e32 v31, v177, v31                               // 00000000A8F0: 0A3E3FB1
	v_mul_f32_e32 v32, v177, v32                               // 00000000A8F4: 0A4041B1
	v_mul_f32_e32 v33, v177, v33                               // 00000000A8F8: 0A4243B1
	v_mul_f32_e32 v34, v177, v34                               // 00000000A8FC: 0A4445B1
	v_mul_f32_e32 v35, v177, v35                               // 00000000A900: 0A4647B1
	v_mul_f32_e32 v36, v178, v36                               // 00000000A904: 0A4849B2
	v_mul_f32_e32 v37, v178, v37                               // 00000000A908: 0A4A4BB2
	v_mul_f32_e32 v38, v178, v38                               // 00000000A90C: 0A4C4DB2
	v_mul_f32_e32 v39, v178, v39                               // 00000000A910: 0A4E4FB2
	v_mul_f32_e32 v40, v178, v40                               // 00000000A914: 0A5051B2
	v_mul_f32_e32 v41, v178, v41                               // 00000000A918: 0A5253B2
	v_mul_f32_e32 v42, v178, v42                               // 00000000A91C: 0A5455B2
	v_mul_f32_e32 v43, v178, v43                               // 00000000A920: 0A5657B2
	v_mul_f32_e32 v44, v178, v44                               // 00000000A924: 0A5859B2
	v_mul_f32_e32 v45, v178, v45                               // 00000000A928: 0A5A5BB2
	v_mul_f32_e32 v46, v178, v46                               // 00000000A92C: 0A5C5DB2
	v_mul_f32_e32 v47, v178, v47                               // 00000000A930: 0A5E5FB2
	v_mul_f32_e32 v48, v178, v48                               // 00000000A934: 0A6061B2
	v_mul_f32_e32 v49, v178, v49                               // 00000000A938: 0A6263B2
	v_mul_f32_e32 v50, v178, v50                               // 00000000A93C: 0A6465B2
	v_mul_f32_e32 v51, v178, v51                               // 00000000A940: 0A6667B2
	v_mul_f32_e32 v52, v179, v52                               // 00000000A944: 0A6869B3
	v_mul_f32_e32 v53, v179, v53                               // 00000000A948: 0A6A6BB3
	v_mul_f32_e32 v54, v179, v54                               // 00000000A94C: 0A6C6DB3
	v_mul_f32_e32 v55, v179, v55                               // 00000000A950: 0A6E6FB3
	v_mul_f32_e32 v56, v179, v56                               // 00000000A954: 0A7071B3
	v_mul_f32_e32 v57, v179, v57                               // 00000000A958: 0A7273B3
	v_mul_f32_e32 v58, v179, v58                               // 00000000A95C: 0A7475B3
	v_mul_f32_e32 v59, v179, v59                               // 00000000A960: 0A7677B3
	v_mul_f32_e32 v60, v179, v60                               // 00000000A964: 0A7879B3
	v_mul_f32_e32 v61, v179, v61                               // 00000000A968: 0A7A7BB3
	v_mul_f32_e32 v62, v179, v62                               // 00000000A96C: 0A7C7DB3
	v_mul_f32_e32 v63, v179, v63                               // 00000000A970: 0A7E7FB3
	v_mul_f32_e32 v64, v179, v64                               // 00000000A974: 0A8081B3
	v_mul_f32_e32 v65, v179, v65                               // 00000000A978: 0A8283B3
	v_mul_f32_e32 v66, v179, v66                               // 00000000A97C: 0A8485B3
	v_mul_f32_e32 v67, v179, v67                               // 00000000A980: 0A8687B3
	v_cvt_pk_fp8_f32 v4, v4, v5                                // 00000000A984: D2A20004 00020B04
	v_cvt_pk_fp8_f32 v4, v6, v7 op_sel:[0,0,1]                 // 00000000A98C: D2A24004 00020F06
	v_cvt_pk_fp8_f32 v5, v8, v9                                // 00000000A994: D2A20005 00021308
	v_cvt_pk_fp8_f32 v5, v10, v11 op_sel:[0,0,1]               // 00000000A99C: D2A24005 0002170A
	v_cvt_pk_fp8_f32 v6, v12, v13                              // 00000000A9A4: D2A20006 00021B0C
	v_cvt_pk_fp8_f32 v6, v14, v15 op_sel:[0,0,1]               // 00000000A9AC: D2A24006 00021F0E
	v_cvt_pk_fp8_f32 v7, v16, v17                              // 00000000A9B4: D2A20007 00022310
	v_cvt_pk_fp8_f32 v7, v18, v19 op_sel:[0,0,1]               // 00000000A9BC: D2A24007 00022712
	v_cvt_pk_fp8_f32 v8, v20, v21                              // 00000000A9C4: D2A20008 00022B14
	v_cvt_pk_fp8_f32 v8, v22, v23 op_sel:[0,0,1]               // 00000000A9CC: D2A24008 00022F16
	v_cvt_pk_fp8_f32 v9, v24, v25                              // 00000000A9D4: D2A20009 00023318
	v_cvt_pk_fp8_f32 v9, v26, v27 op_sel:[0,0,1]               // 00000000A9DC: D2A24009 0002371A
	v_cvt_pk_fp8_f32 v10, v28, v29                             // 00000000A9E4: D2A2000A 00023B1C
	v_cvt_pk_fp8_f32 v10, v30, v31 op_sel:[0,0,1]              // 00000000A9EC: D2A2400A 00023F1E
	v_cvt_pk_fp8_f32 v11, v32, v33                             // 00000000A9F4: D2A2000B 00024320
	v_cvt_pk_fp8_f32 v11, v34, v35 op_sel:[0,0,1]              // 00000000A9FC: D2A2400B 00024722
	v_cvt_pk_fp8_f32 v12, v36, v37                             // 00000000AA04: D2A2000C 00024B24
	v_cvt_pk_fp8_f32 v12, v38, v39 op_sel:[0,0,1]              // 00000000AA0C: D2A2400C 00024F26
	v_cvt_pk_fp8_f32 v13, v40, v41                             // 00000000AA14: D2A2000D 00025328
	v_cvt_pk_fp8_f32 v13, v42, v43 op_sel:[0,0,1]              // 00000000AA1C: D2A2400D 0002572A
	v_cvt_pk_fp8_f32 v14, v44, v45                             // 00000000AA24: D2A2000E 00025B2C
	v_cvt_pk_fp8_f32 v14, v46, v47 op_sel:[0,0,1]              // 00000000AA2C: D2A2400E 00025F2E
	v_cvt_pk_fp8_f32 v15, v48, v49                             // 00000000AA34: D2A2000F 00026330
	v_cvt_pk_fp8_f32 v15, v50, v51 op_sel:[0,0,1]              // 00000000AA3C: D2A2400F 00026732
	v_cvt_pk_fp8_f32 v16, v52, v53                             // 00000000AA44: D2A20010 00026B34
	v_cvt_pk_fp8_f32 v16, v54, v55 op_sel:[0,0,1]              // 00000000AA4C: D2A24010 00026F36
	v_cvt_pk_fp8_f32 v17, v56, v57                             // 00000000AA54: D2A20011 00027338
	v_cvt_pk_fp8_f32 v17, v58, v59 op_sel:[0,0,1]              // 00000000AA5C: D2A24011 0002773A
	v_cvt_pk_fp8_f32 v18, v60, v61                             // 00000000AA64: D2A20012 00027B3C
	v_cvt_pk_fp8_f32 v18, v62, v63 op_sel:[0,0,1]              // 00000000AA6C: D2A24012 00027F3E
	v_cvt_pk_fp8_f32 v19, v64, v65                             // 00000000AA74: D2A20013 00028340
	v_cvt_pk_fp8_f32 v19, v66, v67 op_sel:[0,0,1]              // 00000000AA7C: D2A24013 00028742
	ds_write_b32 v249, v4 offset:8192                          // 00000000AA84: D81A2000 000004F9
	ds_write_b32 v249, v5 offset:9216                          // 00000000AA8C: D81A2400 000005F9
	ds_write_b32 v249, v6 offset:10240                         // 00000000AA94: D81A2800 000006F9
	ds_write_b32 v249, v7 offset:11264                         // 00000000AA9C: D81A2C00 000007F9
	ds_write_b32 v249, v8 offset:12288                         // 00000000AAA4: D81A3000 000008F9
	ds_write_b32 v249, v9 offset:13312                         // 00000000AAAC: D81A3400 000009F9
	ds_write_b32 v249, v10 offset:14336                        // 00000000AAB4: D81A3800 00000AF9
	ds_write_b32 v249, v11 offset:15360                        // 00000000AABC: D81A3C00 00000BF9
	ds_write_b32 v249, v12 offset:16384                        // 00000000AAC4: D81A4000 00000CF9
	ds_write_b32 v249, v13 offset:17408                        // 00000000AACC: D81A4400 00000DF9
	ds_write_b32 v249, v14 offset:18432                        // 00000000AAD4: D81A4800 00000EF9
	ds_write_b32 v249, v15 offset:19456                        // 00000000AADC: D81A4C00 00000FF9
	ds_write_b32 v249, v16 offset:20480                        // 00000000AAE4: D81A5000 000010F9
	ds_write_b32 v249, v17 offset:21504                        // 00000000AAEC: D81A5400 000011F9
	ds_write_b32 v249, v18 offset:22528                        // 00000000AAF4: D81A5800 000012F9
	ds_write_b32 v249, v19 offset:23552                        // 00000000AAFC: D81A5C00 000013F9
	v_rcp_f32_e32 v144, v176                                   // 00000000AB04: 7F2045B0
	v_rcp_f32_e32 v146, v177                                   // 00000000AB08: 7F2445B1
	v_rcp_f32_e32 v148, v178                                   // 00000000AB0C: 7F2845B2
	v_rcp_f32_e32 v150, v179                                   // 00000000AB10: 7F2C45B3
	v_mov_b32_e32 v145, v144                                   // 00000000AB14: 7F220390
	v_mov_b32_e32 v147, v146                                   // 00000000AB18: 7F260392
	v_mov_b32_e32 v149, v148                                   // 00000000AB1C: 7F2A0394
	v_mov_b32_e32 v151, v150                                   // 00000000AB20: 7F2E0396
	v_pk_add_f32 v[100:101], v[100:101], v[68:69]              // 00000000AB24: D3B24064 18028964
	v_pk_add_f32 v[102:103], v[102:103], v[70:71]              // 00000000AB2C: D3B24066 18028D66
	v_pk_add_f32 v[104:105], v[104:105], v[72:73]              // 00000000AB34: D3B24068 18029168
	v_pk_add_f32 v[106:107], v[106:107], v[74:75]              // 00000000AB3C: D3B2406A 1802956A
	v_pk_add_f32 v[108:109], v[108:109], v[76:77]              // 00000000AB44: D3B2406C 1802996C
	v_pk_add_f32 v[110:111], v[110:111], v[78:79]              // 00000000AB4C: D3B2406E 18029D6E
	v_pk_add_f32 v[112:113], v[112:113], v[80:81]              // 00000000AB54: D3B24070 1802A170
	v_pk_add_f32 v[114:115], v[114:115], v[82:83]              // 00000000AB5C: D3B24072 1802A572
	v_pk_add_f32 v[116:117], v[116:117], v[84:85]              // 00000000AB64: D3B24074 1802A974
	v_pk_add_f32 v[118:119], v[118:119], v[86:87]              // 00000000AB6C: D3B24076 1802AD76
	v_pk_add_f32 v[120:121], v[120:121], v[88:89]              // 00000000AB74: D3B24078 1802B178
	v_pk_add_f32 v[122:123], v[122:123], v[90:91]              // 00000000AB7C: D3B2407A 1802B57A
	v_pk_add_f32 v[124:125], v[124:125], v[92:93]              // 00000000AB84: D3B2407C 1802B97C
	v_pk_add_f32 v[126:127], v[126:127], v[94:95]              // 00000000AB8C: D3B2407E 1802BD7E
	v_pk_add_f32 v[128:129], v[128:129], v[96:97]              // 00000000AB94: D3B24080 1802C180
	v_pk_add_f32 v[130:131], v[130:131], v[98:99]              // 00000000AB9C: D3B24082 1802C582
	s_waitcnt lgkmcnt(0)                                       // 00000000ABA4: BF8CC07F
	s_barrier                                                  // 00000000ABA8: BF8A0000
	ds_read_b128 v[4:7], v250 offset:8192                      // 00000000ABAC: D9FE2000 040000FA
	ds_read_b128 v[8:11], v250 offset:9216                     // 00000000ABB4: D9FE2400 080000FA
	ds_read_b128 v[12:15], v250 offset:10240                   // 00000000ABBC: D9FE2800 0C0000FA
	ds_read_b128 v[16:19], v250 offset:11264                   // 00000000ABC4: D9FE2C00 100000FA
	ds_read_b128 v[20:23], v250 offset:12288                   // 00000000ABCC: D9FE3000 140000FA
	ds_read_b128 v[24:27], v250 offset:13312                   // 00000000ABD4: D9FE3400 180000FA
	ds_read_b128 v[28:31], v250 offset:14336                   // 00000000ABDC: D9FE3800 1C0000FA
	ds_read_b128 v[32:35], v250 offset:15360                   // 00000000ABE4: D9FE3C00 200000FA
	ds_read_b128 v[36:39], v250 offset:16384                   // 00000000ABEC: D9FE4000 240000FA
	ds_read_b128 v[40:43], v250 offset:17408                   // 00000000ABF4: D9FE4400 280000FA
	ds_read_b128 v[44:47], v250 offset:18432                   // 00000000ABFC: D9FE4800 2C0000FA
	ds_read_b128 v[48:51], v250 offset:19456                   // 00000000AC04: D9FE4C00 300000FA
	ds_read_b128 v[52:55], v250 offset:20480                   // 00000000AC0C: D9FE5000 340000FA
	ds_read_b128 v[56:59], v250 offset:21504                   // 00000000AC14: D9FE5400 380000FA
	ds_read_b128 v[60:63], v250 offset:22528                   // 00000000AC1C: D9FE5800 3C0000FA
	ds_read_b128 v[64:67], v250 offset:23552                   // 00000000AC24: D9FE5C00 400000FA
	s_waitcnt vmcnt(10)                                        // 00000000AC2C: BF8C0F7A
	v_lshrrev_b32_e32 v203, 4, v0                              // 00000000AC30: 21960084
	v_lshlrev_b32_e32 v203, 4, v203                            // 00000000AC34: 25979684
	v_add_u32_e32 v196, s64, v203                              // 00000000AC38: 69899640
	v_add_u32_e32 v196, 4, v196                                // 00000000AC3C: 69898884
	v_sub_i32 v196, v196, s62                                  // 00000000AC40: D29D00C4 00007DC4
	s_mov_b32 s54, 0                                           // 00000000AC48: BEB60080
	v_add_i32 v197, s54, v196                                  // 00000000AC4C: D29C00C5 00038836
	v_cmp_lt_i32_e64 vcc, v197, 4                              // 00000000AC54: D0C1006A 000109C5
	v_min_u32_e32 v197, 4, v197                                // 00000000AC5C: 1D8B8A84
	v_lshlrev_b32_e32 v197, 3, v197                            // 00000000AC60: 258B8A83
	v_lshrrev_b32_e64 v198, v197, -1                           // 00000000AC64: D11000C6 000183C5
	v_accvgpr_read_b32 v199, a96                               // 00000000AC6C: D3D840C7 18000160
	v_cndmask_b32_e32 v199, 0, v199, vcc                       // 00000000AC74: 018F8E80
	v_and_b32_e32 v199, v199, v198                             // 00000000AC78: 278F8DC7
	v_accvgpr_write_b32 a96, v199                              // 00000000AC7C: D3D94060 180001C7
	v_accvgpr_read_b32 v199, a112                              // 00000000AC84: D3D840C7 18000170
	v_cndmask_b32_e32 v199, 0, v199, vcc                       // 00000000AC8C: 018F8E80
	v_and_b32_e32 v199, v199, v198                             // 00000000AC90: 278F8DC7
	v_accvgpr_write_b32 a112, v199                             // 00000000AC94: D3D94070 180001C7
	s_mov_b32 s54, 4                                           // 00000000AC9C: BEB60084
	v_add_i32 v197, s54, v196                                  // 00000000ACA0: D29C00C5 00038836
	v_cmp_lt_i32_e64 vcc, v197, 4                              // 00000000ACA8: D0C1006A 000109C5
	v_min_u32_e32 v197, 4, v197                                // 00000000ACB0: 1D8B8A84
	v_lshlrev_b32_e32 v197, 3, v197                            // 00000000ACB4: 258B8A83
	v_lshrrev_b32_e64 v198, v197, -1                           // 00000000ACB8: D11000C6 000183C5
	v_accvgpr_read_b32 v199, a97                               // 00000000ACC0: D3D840C7 18000161
	v_cndmask_b32_e32 v199, 0, v199, vcc                       // 00000000ACC8: 018F8E80
	v_and_b32_e32 v199, v199, v198                             // 00000000ACCC: 278F8DC7
	v_accvgpr_write_b32 a97, v199                              // 00000000ACD0: D3D94061 180001C7
	v_accvgpr_read_b32 v199, a113                              // 00000000ACD8: D3D840C7 18000171
	v_cndmask_b32_e32 v199, 0, v199, vcc                       // 00000000ACE0: 018F8E80
	v_and_b32_e32 v199, v199, v198                             // 00000000ACE4: 278F8DC7
	v_accvgpr_write_b32 a113, v199                             // 00000000ACE8: D3D94071 180001C7
	s_mov_b32 s54, 8                                           // 00000000ACF0: BEB60088
	v_add_i32 v197, s54, v196                                  // 00000000ACF4: D29C00C5 00038836
	v_cmp_lt_i32_e64 vcc, v197, 4                              // 00000000ACFC: D0C1006A 000109C5
	v_min_u32_e32 v197, 4, v197                                // 00000000AD04: 1D8B8A84
	v_lshlrev_b32_e32 v197, 3, v197                            // 00000000AD08: 258B8A83
	v_lshrrev_b32_e64 v198, v197, -1                           // 00000000AD0C: D11000C6 000183C5
	v_accvgpr_read_b32 v199, a98                               // 00000000AD14: D3D840C7 18000162
	v_cndmask_b32_e32 v199, 0, v199, vcc                       // 00000000AD1C: 018F8E80
	v_and_b32_e32 v199, v199, v198                             // 00000000AD20: 278F8DC7
	v_accvgpr_write_b32 a98, v199                              // 00000000AD24: D3D94062 180001C7
	v_accvgpr_read_b32 v199, a114                              // 00000000AD2C: D3D840C7 18000172
	v_cndmask_b32_e32 v199, 0, v199, vcc                       // 00000000AD34: 018F8E80
	v_and_b32_e32 v199, v199, v198                             // 00000000AD38: 278F8DC7
	v_accvgpr_write_b32 a114, v199                             // 00000000AD3C: D3D94072 180001C7
	s_mov_b32 s54, 12                                          // 00000000AD44: BEB6008C
	v_add_i32 v197, s54, v196                                  // 00000000AD48: D29C00C5 00038836
	v_cmp_lt_i32_e64 vcc, v197, 4                              // 00000000AD50: D0C1006A 000109C5
	v_min_u32_e32 v197, 4, v197                                // 00000000AD58: 1D8B8A84
	v_lshlrev_b32_e32 v197, 3, v197                            // 00000000AD5C: 258B8A83
	v_lshrrev_b32_e64 v198, v197, -1                           // 00000000AD60: D11000C6 000183C5
	v_accvgpr_read_b32 v199, a99                               // 00000000AD68: D3D840C7 18000163
	v_cndmask_b32_e32 v199, 0, v199, vcc                       // 00000000AD70: 018F8E80
	v_and_b32_e32 v199, v199, v198                             // 00000000AD74: 278F8DC7
	v_accvgpr_write_b32 a99, v199                              // 00000000AD78: D3D94063 180001C7
	v_accvgpr_read_b32 v199, a115                              // 00000000AD80: D3D840C7 18000173
	v_cndmask_b32_e32 v199, 0, v199, vcc                       // 00000000AD88: 018F8E80
	v_and_b32_e32 v199, v199, v198                             // 00000000AD8C: 278F8DC7
	v_accvgpr_write_b32 a115, v199                             // 00000000AD90: D3D94073 180001C7
	s_mov_b32 s54, 64                                          // 00000000AD98: BEB600C0
	v_add_i32 v197, s54, v196                                  // 00000000AD9C: D29C00C5 00038836
	v_cmp_lt_i32_e64 vcc, v197, 4                              // 00000000ADA4: D0C1006A 000109C5
	v_min_u32_e32 v197, 4, v197                                // 00000000ADAC: 1D8B8A84
	v_lshlrev_b32_e32 v197, 3, v197                            // 00000000ADB0: 258B8A83
	v_lshrrev_b32_e64 v198, v197, -1                           // 00000000ADB4: D11000C6 000183C5
	v_accvgpr_read_b32 v199, a100                              // 00000000ADBC: D3D840C7 18000164
	v_cndmask_b32_e32 v199, 0, v199, vcc                       // 00000000ADC4: 018F8E80
	v_and_b32_e32 v199, v199, v198                             // 00000000ADC8: 278F8DC7
	v_accvgpr_write_b32 a100, v199                             // 00000000ADCC: D3D94064 180001C7
	v_accvgpr_read_b32 v199, a116                              // 00000000ADD4: D3D840C7 18000174
	v_cndmask_b32_e32 v199, 0, v199, vcc                       // 00000000ADDC: 018F8E80
	v_and_b32_e32 v199, v199, v198                             // 00000000ADE0: 278F8DC7
	v_accvgpr_write_b32 a116, v199                             // 00000000ADE4: D3D94074 180001C7
	s_mov_b32 s54, 0x44                                        // 00000000ADEC: BEB600FF 00000044
	v_add_i32 v197, s54, v196                                  // 00000000ADF4: D29C00C5 00038836
	v_cmp_lt_i32_e64 vcc, v197, 4                              // 00000000ADFC: D0C1006A 000109C5
	v_min_u32_e32 v197, 4, v197                                // 00000000AE04: 1D8B8A84
	v_lshlrev_b32_e32 v197, 3, v197                            // 00000000AE08: 258B8A83
	v_lshrrev_b32_e64 v198, v197, -1                           // 00000000AE0C: D11000C6 000183C5
	v_accvgpr_read_b32 v199, a101                              // 00000000AE14: D3D840C7 18000165
	v_cndmask_b32_e32 v199, 0, v199, vcc                       // 00000000AE1C: 018F8E80
	v_and_b32_e32 v199, v199, v198                             // 00000000AE20: 278F8DC7
	v_accvgpr_write_b32 a101, v199                             // 00000000AE24: D3D94065 180001C7
	v_accvgpr_read_b32 v199, a117                              // 00000000AE2C: D3D840C7 18000175
	v_cndmask_b32_e32 v199, 0, v199, vcc                       // 00000000AE34: 018F8E80
	v_and_b32_e32 v199, v199, v198                             // 00000000AE38: 278F8DC7
	v_accvgpr_write_b32 a117, v199                             // 00000000AE3C: D3D94075 180001C7
	s_mov_b32 s54, 0x48                                        // 00000000AE44: BEB600FF 00000048
	v_add_i32 v197, s54, v196                                  // 00000000AE4C: D29C00C5 00038836
	v_cmp_lt_i32_e64 vcc, v197, 4                              // 00000000AE54: D0C1006A 000109C5
	v_min_u32_e32 v197, 4, v197                                // 00000000AE5C: 1D8B8A84
	v_lshlrev_b32_e32 v197, 3, v197                            // 00000000AE60: 258B8A83
	v_lshrrev_b32_e64 v198, v197, -1                           // 00000000AE64: D11000C6 000183C5
	v_accvgpr_read_b32 v199, a102                              // 00000000AE6C: D3D840C7 18000166
	v_cndmask_b32_e32 v199, 0, v199, vcc                       // 00000000AE74: 018F8E80
	v_and_b32_e32 v199, v199, v198                             // 00000000AE78: 278F8DC7
	v_accvgpr_write_b32 a102, v199                             // 00000000AE7C: D3D94066 180001C7
	v_accvgpr_read_b32 v199, a118                              // 00000000AE84: D3D840C7 18000176
	v_cndmask_b32_e32 v199, 0, v199, vcc                       // 00000000AE8C: 018F8E80
	v_and_b32_e32 v199, v199, v198                             // 00000000AE90: 278F8DC7
	v_accvgpr_write_b32 a118, v199                             // 00000000AE94: D3D94076 180001C7
	s_mov_b32 s54, 0x4c                                        // 00000000AE9C: BEB600FF 0000004C
	v_add_i32 v197, s54, v196                                  // 00000000AEA4: D29C00C5 00038836
	v_cmp_lt_i32_e64 vcc, v197, 4                              // 00000000AEAC: D0C1006A 000109C5
	v_min_u32_e32 v197, 4, v197                                // 00000000AEB4: 1D8B8A84
	v_lshlrev_b32_e32 v197, 3, v197                            // 00000000AEB8: 258B8A83
	v_lshrrev_b32_e64 v198, v197, -1                           // 00000000AEBC: D11000C6 000183C5
	v_accvgpr_read_b32 v199, a103                              // 00000000AEC4: D3D840C7 18000167
	v_cndmask_b32_e32 v199, 0, v199, vcc                       // 00000000AECC: 018F8E80
	v_and_b32_e32 v199, v199, v198                             // 00000000AED0: 278F8DC7
	v_accvgpr_write_b32 a103, v199                             // 00000000AED4: D3D94067 180001C7
	v_accvgpr_read_b32 v199, a119                              // 00000000AEDC: D3D840C7 18000177
	v_cndmask_b32_e32 v199, 0, v199, vcc                       // 00000000AEE4: 018F8E80
	v_and_b32_e32 v199, v199, v198                             // 00000000AEE8: 278F8DC7
	v_accvgpr_write_b32 a119, v199                             // 00000000AEEC: D3D94077 180001C7
	s_mov_b32 s54, 0x80                                        // 00000000AEF4: BEB600FF 00000080
	v_add_i32 v197, s54, v196                                  // 00000000AEFC: D29C00C5 00038836
	v_cmp_lt_i32_e64 vcc, v197, 4                              // 00000000AF04: D0C1006A 000109C5
	v_min_u32_e32 v197, 4, v197                                // 00000000AF0C: 1D8B8A84
	v_lshlrev_b32_e32 v197, 3, v197                            // 00000000AF10: 258B8A83
	v_lshrrev_b32_e64 v198, v197, -1                           // 00000000AF14: D11000C6 000183C5
	v_accvgpr_read_b32 v199, a104                              // 00000000AF1C: D3D840C7 18000168
	v_cndmask_b32_e32 v199, 0, v199, vcc                       // 00000000AF24: 018F8E80
	v_and_b32_e32 v199, v199, v198                             // 00000000AF28: 278F8DC7
	v_accvgpr_write_b32 a104, v199                             // 00000000AF2C: D3D94068 180001C7
	v_accvgpr_read_b32 v199, a120                              // 00000000AF34: D3D840C7 18000178
	v_cndmask_b32_e32 v199, 0, v199, vcc                       // 00000000AF3C: 018F8E80
	v_and_b32_e32 v199, v199, v198                             // 00000000AF40: 278F8DC7
	v_accvgpr_write_b32 a120, v199                             // 00000000AF44: D3D94078 180001C7
	s_mov_b32 s54, 0x84                                        // 00000000AF4C: BEB600FF 00000084
	v_add_i32 v197, s54, v196                                  // 00000000AF54: D29C00C5 00038836
	v_cmp_lt_i32_e64 vcc, v197, 4                              // 00000000AF5C: D0C1006A 000109C5
	v_min_u32_e32 v197, 4, v197                                // 00000000AF64: 1D8B8A84
	v_lshlrev_b32_e32 v197, 3, v197                            // 00000000AF68: 258B8A83
	v_lshrrev_b32_e64 v198, v197, -1                           // 00000000AF6C: D11000C6 000183C5
	v_accvgpr_read_b32 v199, a105                              // 00000000AF74: D3D840C7 18000169
	v_cndmask_b32_e32 v199, 0, v199, vcc                       // 00000000AF7C: 018F8E80
	v_and_b32_e32 v199, v199, v198                             // 00000000AF80: 278F8DC7
	v_accvgpr_write_b32 a105, v199                             // 00000000AF84: D3D94069 180001C7
	v_accvgpr_read_b32 v199, a121                              // 00000000AF8C: D3D840C7 18000179
	v_cndmask_b32_e32 v199, 0, v199, vcc                       // 00000000AF94: 018F8E80
	v_and_b32_e32 v199, v199, v198                             // 00000000AF98: 278F8DC7
	v_accvgpr_write_b32 a121, v199                             // 00000000AF9C: D3D94079 180001C7
	s_mov_b32 s54, 0x88                                        // 00000000AFA4: BEB600FF 00000088
	v_add_i32 v197, s54, v196                                  // 00000000AFAC: D29C00C5 00038836
	v_cmp_lt_i32_e64 vcc, v197, 4                              // 00000000AFB4: D0C1006A 000109C5
	v_min_u32_e32 v197, 4, v197                                // 00000000AFBC: 1D8B8A84
	v_lshlrev_b32_e32 v197, 3, v197                            // 00000000AFC0: 258B8A83
	v_lshrrev_b32_e64 v198, v197, -1                           // 00000000AFC4: D11000C6 000183C5
	v_accvgpr_read_b32 v199, a106                              // 00000000AFCC: D3D840C7 1800016A
	v_cndmask_b32_e32 v199, 0, v199, vcc                       // 00000000AFD4: 018F8E80
	v_and_b32_e32 v199, v199, v198                             // 00000000AFD8: 278F8DC7
	v_accvgpr_write_b32 a106, v199                             // 00000000AFDC: D3D9406A 180001C7
	v_accvgpr_read_b32 v199, a122                              // 00000000AFE4: D3D840C7 1800017A
	v_cndmask_b32_e32 v199, 0, v199, vcc                       // 00000000AFEC: 018F8E80
	v_and_b32_e32 v199, v199, v198                             // 00000000AFF0: 278F8DC7
	v_accvgpr_write_b32 a122, v199                             // 00000000AFF4: D3D9407A 180001C7
	s_mov_b32 s54, 0x8c                                        // 00000000AFFC: BEB600FF 0000008C
	v_add_i32 v197, s54, v196                                  // 00000000B004: D29C00C5 00038836
	v_cmp_lt_i32_e64 vcc, v197, 4                              // 00000000B00C: D0C1006A 000109C5
	v_min_u32_e32 v197, 4, v197                                // 00000000B014: 1D8B8A84
	v_lshlrev_b32_e32 v197, 3, v197                            // 00000000B018: 258B8A83
	v_lshrrev_b32_e64 v198, v197, -1                           // 00000000B01C: D11000C6 000183C5
	v_accvgpr_read_b32 v199, a107                              // 00000000B024: D3D840C7 1800016B
	v_cndmask_b32_e32 v199, 0, v199, vcc                       // 00000000B02C: 018F8E80
	v_and_b32_e32 v199, v199, v198                             // 00000000B030: 278F8DC7
	v_accvgpr_write_b32 a107, v199                             // 00000000B034: D3D9406B 180001C7
	v_accvgpr_read_b32 v199, a123                              // 00000000B03C: D3D840C7 1800017B
	v_cndmask_b32_e32 v199, 0, v199, vcc                       // 00000000B044: 018F8E80
	v_and_b32_e32 v199, v199, v198                             // 00000000B048: 278F8DC7
	v_accvgpr_write_b32 a123, v199                             // 00000000B04C: D3D9407B 180001C7
	s_mov_b32 s54, 0xc0                                        // 00000000B054: BEB600FF 000000C0
	v_add_i32 v197, s54, v196                                  // 00000000B05C: D29C00C5 00038836
	v_cmp_lt_i32_e64 vcc, v197, 4                              // 00000000B064: D0C1006A 000109C5
	v_min_u32_e32 v197, 4, v197                                // 00000000B06C: 1D8B8A84
	v_lshlrev_b32_e32 v197, 3, v197                            // 00000000B070: 258B8A83
	v_lshrrev_b32_e64 v198, v197, -1                           // 00000000B074: D11000C6 000183C5
	v_accvgpr_read_b32 v199, a108                              // 00000000B07C: D3D840C7 1800016C
	v_cndmask_b32_e32 v199, 0, v199, vcc                       // 00000000B084: 018F8E80
	v_and_b32_e32 v199, v199, v198                             // 00000000B088: 278F8DC7
	v_accvgpr_write_b32 a108, v199                             // 00000000B08C: D3D9406C 180001C7
	v_accvgpr_read_b32 v199, a124                              // 00000000B094: D3D840C7 1800017C
	v_cndmask_b32_e32 v199, 0, v199, vcc                       // 00000000B09C: 018F8E80
	v_and_b32_e32 v199, v199, v198                             // 00000000B0A0: 278F8DC7
	v_accvgpr_write_b32 a124, v199                             // 00000000B0A4: D3D9407C 180001C7
	s_mov_b32 s54, 0xc4                                        // 00000000B0AC: BEB600FF 000000C4
	v_add_i32 v197, s54, v196                                  // 00000000B0B4: D29C00C5 00038836
	v_cmp_lt_i32_e64 vcc, v197, 4                              // 00000000B0BC: D0C1006A 000109C5
	v_min_u32_e32 v197, 4, v197                                // 00000000B0C4: 1D8B8A84
	v_lshlrev_b32_e32 v197, 3, v197                            // 00000000B0C8: 258B8A83
	v_lshrrev_b32_e64 v198, v197, -1                           // 00000000B0CC: D11000C6 000183C5
	v_accvgpr_read_b32 v199, a109                              // 00000000B0D4: D3D840C7 1800016D
	v_cndmask_b32_e32 v199, 0, v199, vcc                       // 00000000B0DC: 018F8E80
	v_and_b32_e32 v199, v199, v198                             // 00000000B0E0: 278F8DC7
	v_accvgpr_write_b32 a109, v199                             // 00000000B0E4: D3D9406D 180001C7
	v_accvgpr_read_b32 v199, a125                              // 00000000B0EC: D3D840C7 1800017D
	v_cndmask_b32_e32 v199, 0, v199, vcc                       // 00000000B0F4: 018F8E80
	v_and_b32_e32 v199, v199, v198                             // 00000000B0F8: 278F8DC7
	v_accvgpr_write_b32 a125, v199                             // 00000000B0FC: D3D9407D 180001C7
	s_mov_b32 s54, 0xc8                                        // 00000000B104: BEB600FF 000000C8
	v_add_i32 v197, s54, v196                                  // 00000000B10C: D29C00C5 00038836
	v_cmp_lt_i32_e64 vcc, v197, 4                              // 00000000B114: D0C1006A 000109C5
	v_min_u32_e32 v197, 4, v197                                // 00000000B11C: 1D8B8A84
	v_lshlrev_b32_e32 v197, 3, v197                            // 00000000B120: 258B8A83
	v_lshrrev_b32_e64 v198, v197, -1                           // 00000000B124: D11000C6 000183C5
	v_accvgpr_read_b32 v199, a110                              // 00000000B12C: D3D840C7 1800016E
	v_cndmask_b32_e32 v199, 0, v199, vcc                       // 00000000B134: 018F8E80
	v_and_b32_e32 v199, v199, v198                             // 00000000B138: 278F8DC7
	v_accvgpr_write_b32 a110, v199                             // 00000000B13C: D3D9406E 180001C7
	v_accvgpr_read_b32 v199, a126                              // 00000000B144: D3D840C7 1800017E
	v_cndmask_b32_e32 v199, 0, v199, vcc                       // 00000000B14C: 018F8E80
	v_and_b32_e32 v199, v199, v198                             // 00000000B150: 278F8DC7
	v_accvgpr_write_b32 a126, v199                             // 00000000B154: D3D9407E 180001C7
	s_mov_b32 s54, 0xcc                                        // 00000000B15C: BEB600FF 000000CC
	v_add_i32 v197, s54, v196                                  // 00000000B164: D29C00C5 00038836
	v_cmp_lt_i32_e64 vcc, v197, 4                              // 00000000B16C: D0C1006A 000109C5
	v_min_u32_e32 v197, 4, v197                                // 00000000B174: 1D8B8A84
	v_lshlrev_b32_e32 v197, 3, v197                            // 00000000B178: 258B8A83
	v_lshrrev_b32_e64 v198, v197, -1                           // 00000000B17C: D11000C6 000183C5
	v_accvgpr_read_b32 v199, a111                              // 00000000B184: D3D840C7 1800016F
	v_cndmask_b32_e32 v199, 0, v199, vcc                       // 00000000B18C: 018F8E80
	v_and_b32_e32 v199, v199, v198                             // 00000000B190: 278F8DC7
	v_accvgpr_write_b32 a111, v199                             // 00000000B194: D3D9406F 180001C7
	v_accvgpr_read_b32 v199, a127                              // 00000000B19C: D3D840C7 1800017F
	v_cndmask_b32_e32 v199, 0, v199, vcc                       // 00000000B1A4: 018F8E80
	v_and_b32_e32 v199, v199, v198                             // 00000000B1A8: 278F8DC7
	v_accvgpr_write_b32 a127, v199                             // 00000000B1AC: D3D9407F 180001C7
	s_waitcnt vmcnt(63) expcnt(7) lgkmcnt(15)                  // 00000000B1B4: BF8CCF7F
	v_mfma_f32_16x16x32_fp8_fp8 v[68:71], a[96:97], v[4:5], 0  // 00000000B1B8: D3F30044 0A020960
	v_mfma_f32_16x16x32_fp8_fp8 v[72:75], a[112:113], v[4:5], 0// 00000000B1C0: D3F30048 0A020970
	v_mfma_f32_16x16x32_fp8_fp8 v[68:71], a[98:99], v[6:7], v[68:71]// 00000000B1C8: D3F30044 0D120D62
	buffer_load_dwordx4 a[128:131], v227, s[16:19], 0 offen    // 00000000B1D0: E05C1000 808480E3
	v_mfma_f32_16x16x32_fp8_fp8 v[72:75], a[114:115], v[6:7], v[72:75]// 00000000B1D8: D3F30048 0D220D72
	s_waitcnt lgkmcnt(14)                                      // 00000000B1E0: BF8CCE7F
	v_mfma_f32_16x16x32_fp8_fp8 v[68:71], a[100:101], v[8:9], v[68:71]// 00000000B1E4: D3F30044 0D121164
	v_mfma_f32_16x16x32_fp8_fp8 v[72:75], a[116:117], v[8:9], v[72:75]// 00000000B1EC: D3F30048 0D221174
	v_mfma_f32_16x16x32_fp8_fp8 v[68:71], a[102:103], v[10:11], v[68:71]// 00000000B1F4: D3F30044 0D121566
	buffer_load_dwordx4 a[132:135], v228, s[16:19], 0 offen    // 00000000B1FC: E05C1000 808484E4
	v_mfma_f32_16x16x32_fp8_fp8 v[72:75], a[118:119], v[10:11], v[72:75]// 00000000B204: D3F30048 0D221576
	s_waitcnt lgkmcnt(13)                                      // 00000000B20C: BF8CCD7F
	v_mfma_f32_16x16x32_fp8_fp8 v[68:71], a[104:105], v[12:13], v[68:71]// 00000000B210: D3F30044 0D121968
	v_mfma_f32_16x16x32_fp8_fp8 v[72:75], a[120:121], v[12:13], v[72:75]// 00000000B218: D3F30048 0D221978
	v_mfma_f32_16x16x32_fp8_fp8 v[68:71], a[106:107], v[14:15], v[68:71]// 00000000B220: D3F30044 0D121D6A
	buffer_load_dwordx4 a[136:139], v229, s[16:19], 0 offen    // 00000000B228: E05C1000 808488E5
	v_mfma_f32_16x16x32_fp8_fp8 v[72:75], a[122:123], v[14:15], v[72:75]// 00000000B230: D3F30048 0D221D7A
	s_waitcnt lgkmcnt(12)                                      // 00000000B238: BF8CCC7F
	v_mfma_f32_16x16x32_fp8_fp8 v[68:71], a[108:109], v[16:17], v[68:71]// 00000000B23C: D3F30044 0D12216C
	v_mfma_f32_16x16x32_fp8_fp8 v[72:75], a[124:125], v[16:17], v[72:75]// 00000000B244: D3F30048 0D22217C
	v_mfma_f32_16x16x32_fp8_fp8 v[68:71], a[110:111], v[18:19], v[68:71]// 00000000B24C: D3F30044 0D12256E
	buffer_load_dwordx4 a[140:143], v230, s[16:19], 0 offen    // 00000000B254: E05C1000 80848CE6
	v_mfma_f32_16x16x32_fp8_fp8 v[72:75], a[126:127], v[18:19], v[72:75]// 00000000B25C: D3F30048 0D22257E
	s_waitcnt lgkmcnt(11)                                      // 00000000B264: BF8CCB7F
	v_mfma_f32_16x16x32_fp8_fp8 v[76:79], a[96:97], v[20:21], 0// 00000000B268: D3F3004C 0A022960
	v_mfma_f32_16x16x32_fp8_fp8 v[80:83], a[112:113], v[20:21], 0// 00000000B270: D3F30050 0A022970
	v_mfma_f32_16x16x32_fp8_fp8 v[76:79], a[98:99], v[22:23], v[76:79]// 00000000B278: D3F3004C 0D322D62
	buffer_load_dwordx4 a[144:147], v227, s[16:19], 0 offen offset:1024// 00000000B280: E05C1400 808490E3
	v_mfma_f32_16x16x32_fp8_fp8 v[80:83], a[114:115], v[22:23], v[80:83]// 00000000B288: D3F30050 0D422D72
	s_waitcnt lgkmcnt(10)                                      // 00000000B290: BF8CCA7F
	v_mfma_f32_16x16x32_fp8_fp8 v[76:79], a[100:101], v[24:25], v[76:79]// 00000000B294: D3F3004C 0D323164
	v_mfma_f32_16x16x32_fp8_fp8 v[80:83], a[116:117], v[24:25], v[80:83]// 00000000B29C: D3F30050 0D423174
	v_mfma_f32_16x16x32_fp8_fp8 v[76:79], a[102:103], v[26:27], v[76:79]// 00000000B2A4: D3F3004C 0D323566
	buffer_load_dwordx4 a[148:151], v228, s[16:19], 0 offen offset:1024// 00000000B2AC: E05C1400 808494E4
	v_mfma_f32_16x16x32_fp8_fp8 v[80:83], a[118:119], v[26:27], v[80:83]// 00000000B2B4: D3F30050 0D423576
	s_waitcnt lgkmcnt(9)                                       // 00000000B2BC: BF8CC97F
	v_mfma_f32_16x16x32_fp8_fp8 v[76:79], a[104:105], v[28:29], v[76:79]// 00000000B2C0: D3F3004C 0D323968
	v_mfma_f32_16x16x32_fp8_fp8 v[80:83], a[120:121], v[28:29], v[80:83]// 00000000B2C8: D3F30050 0D423978
	v_mfma_f32_16x16x32_fp8_fp8 v[76:79], a[106:107], v[30:31], v[76:79]// 00000000B2D0: D3F3004C 0D323D6A
	buffer_load_dwordx4 a[152:155], v229, s[16:19], 0 offen offset:1024// 00000000B2D8: E05C1400 808498E5
	v_mfma_f32_16x16x32_fp8_fp8 v[80:83], a[122:123], v[30:31], v[80:83]// 00000000B2E0: D3F30050 0D423D7A
	s_waitcnt lgkmcnt(8)                                       // 00000000B2E8: BF8CC87F
	v_mfma_f32_16x16x32_fp8_fp8 v[76:79], a[108:109], v[32:33], v[76:79]// 00000000B2EC: D3F3004C 0D32416C
	v_mfma_f32_16x16x32_fp8_fp8 v[80:83], a[124:125], v[32:33], v[80:83]// 00000000B2F4: D3F30050 0D42417C
	v_mfma_f32_16x16x32_fp8_fp8 v[76:79], a[110:111], v[34:35], v[76:79]// 00000000B2FC: D3F3004C 0D32456E
	buffer_load_dwordx4 a[156:159], v230, s[16:19], 0 offen offset:1024// 00000000B304: E05C1400 80849CE6
	v_mfma_f32_16x16x32_fp8_fp8 v[80:83], a[126:127], v[34:35], v[80:83]// 00000000B30C: D3F30050 0D42457E
	s_waitcnt lgkmcnt(7)                                       // 00000000B314: BF8CC77F
	v_mfma_f32_16x16x32_fp8_fp8 v[84:87], a[96:97], v[36:37], 0// 00000000B318: D3F30054 0A024960
	v_mfma_f32_16x16x32_fp8_fp8 v[88:91], a[112:113], v[36:37], 0// 00000000B320: D3F30058 0A024970
	v_mfma_f32_16x16x32_fp8_fp8 v[84:87], a[98:99], v[38:39], v[84:87]// 00000000B328: D3F30054 0D524D62
	v_mfma_f32_16x16x32_fp8_fp8 v[88:91], a[114:115], v[38:39], v[88:91]// 00000000B330: D3F30058 0D624D72
	s_waitcnt lgkmcnt(6)                                       // 00000000B338: BF8CC67F
	v_mfma_f32_16x16x32_fp8_fp8 v[84:87], a[100:101], v[40:41], v[84:87]// 00000000B33C: D3F30054 0D525164
	v_mfma_f32_16x16x32_fp8_fp8 v[88:91], a[116:117], v[40:41], v[88:91]// 00000000B344: D3F30058 0D625174
	v_mfma_f32_16x16x32_fp8_fp8 v[84:87], a[102:103], v[42:43], v[84:87]// 00000000B34C: D3F30054 0D525566
	v_mfma_f32_16x16x32_fp8_fp8 v[88:91], a[118:119], v[42:43], v[88:91]// 00000000B354: D3F30058 0D625576
	s_waitcnt lgkmcnt(5)                                       // 00000000B35C: BF8CC57F
	v_mfma_f32_16x16x32_fp8_fp8 v[84:87], a[104:105], v[44:45], v[84:87]// 00000000B360: D3F30054 0D525968
	v_mfma_f32_16x16x32_fp8_fp8 v[88:91], a[120:121], v[44:45], v[88:91]// 00000000B368: D3F30058 0D625978
	v_mfma_f32_16x16x32_fp8_fp8 v[84:87], a[106:107], v[46:47], v[84:87]// 00000000B370: D3F30054 0D525D6A
	v_mfma_f32_16x16x32_fp8_fp8 v[88:91], a[122:123], v[46:47], v[88:91]// 00000000B378: D3F30058 0D625D7A
	s_waitcnt lgkmcnt(4)                                       // 00000000B380: BF8CC47F
	v_mfma_f32_16x16x32_fp8_fp8 v[84:87], a[108:109], v[48:49], v[84:87]// 00000000B384: D3F30054 0D52616C
	v_mfma_f32_16x16x32_fp8_fp8 v[88:91], a[124:125], v[48:49], v[88:91]// 00000000B38C: D3F30058 0D62617C
	v_mfma_f32_16x16x32_fp8_fp8 v[84:87], a[110:111], v[50:51], v[84:87]// 00000000B394: D3F30054 0D52656E
	v_mfma_f32_16x16x32_fp8_fp8 v[88:91], a[126:127], v[50:51], v[88:91]// 00000000B39C: D3F30058 0D62657E
	s_waitcnt lgkmcnt(3)                                       // 00000000B3A4: BF8CC37F
	v_mfma_f32_16x16x32_fp8_fp8 v[92:95], a[96:97], v[52:53], 0// 00000000B3A8: D3F3005C 0A026960
	v_mfma_f32_16x16x32_fp8_fp8 v[96:99], a[112:113], v[52:53], 0// 00000000B3B0: D3F30060 0A026970
	v_mfma_f32_16x16x32_fp8_fp8 v[92:95], a[98:99], v[54:55], v[92:95]// 00000000B3B8: D3F3005C 0D726D62
	v_mfma_f32_16x16x32_fp8_fp8 v[96:99], a[114:115], v[54:55], v[96:99]// 00000000B3C0: D3F30060 0D826D72
	s_waitcnt lgkmcnt(2)                                       // 00000000B3C8: BF8CC27F
	v_mfma_f32_16x16x32_fp8_fp8 v[92:95], a[100:101], v[56:57], v[92:95]// 00000000B3CC: D3F3005C 0D727164
	v_mfma_f32_16x16x32_fp8_fp8 v[96:99], a[116:117], v[56:57], v[96:99]// 00000000B3D4: D3F30060 0D827174
	v_mfma_f32_16x16x32_fp8_fp8 v[92:95], a[102:103], v[58:59], v[92:95]// 00000000B3DC: D3F3005C 0D727566
	v_mfma_f32_16x16x32_fp8_fp8 v[96:99], a[118:119], v[58:59], v[96:99]// 00000000B3E4: D3F30060 0D827576
	s_waitcnt lgkmcnt(1)                                       // 00000000B3EC: BF8CC17F
	v_mfma_f32_16x16x32_fp8_fp8 v[92:95], a[104:105], v[60:61], v[92:95]// 00000000B3F0: D3F3005C 0D727968
	v_mfma_f32_16x16x32_fp8_fp8 v[96:99], a[120:121], v[60:61], v[96:99]// 00000000B3F8: D3F30060 0D827978
	v_mfma_f32_16x16x32_fp8_fp8 v[92:95], a[106:107], v[62:63], v[92:95]// 00000000B400: D3F3005C 0D727D6A
	v_mfma_f32_16x16x32_fp8_fp8 v[96:99], a[122:123], v[62:63], v[96:99]// 00000000B408: D3F30060 0D827D7A
	s_waitcnt lgkmcnt(0)                                       // 00000000B410: BF8CC07F
	v_mfma_f32_16x16x32_fp8_fp8 v[92:95], a[108:109], v[64:65], v[92:95]// 00000000B414: D3F3005C 0D72816C
	v_mfma_f32_16x16x32_fp8_fp8 v[96:99], a[124:125], v[64:65], v[96:99]// 00000000B41C: D3F30060 0D82817C
	v_mfma_f32_16x16x32_fp8_fp8 v[92:95], a[110:111], v[66:67], v[92:95]// 00000000B424: D3F3005C 0D72856E
	v_mfma_f32_16x16x32_fp8_fp8 v[96:99], a[126:127], v[66:67], v[96:99]// 00000000B42C: D3F30060 0D82857E
	s_addk_i32 s64, 0x100                                      // 00000000B434: B7400100
	s_branch label_238F                                        // 00000000B438: BF820000

000000000000b43c <label_238F>:
	s_cmp_lt_i32 s64, s62                                      // 00000000B43C: BF043E40
	s_cbranch_scc0 label_2CA4                                  // 00000000B440: BF840913
	s_waitcnt vmcnt(10)                                        // 00000000B444: BF8C0F7A
	s_lshl_b32 s68, s76, 2                                     // 00000000B448: 8E44824C
	s_cmp_lt_u32 s76, s77                                      // 00000000B44C: BF0A4D4C
	s_cselect_b32 s68, s68, 0                                  // 00000000B450: 85448044
	s_addk_i32 s76, 0x1                                        // 00000000B454: B74C0001
	s_load_dword s59, s[42:43], s68                            // 00000000B458: C0000ED5 00000044
	s_waitcnt lgkmcnt(0)                                       // 00000000B460: BF8CC07F
	s_mul_i32 s69, s59, s50                                    // 00000000B464: 9245323B
	s_mul_i32 s71, s59, s66                                    // 00000000B468: 9247423B
	s_mul_i32 s54, s78, s51                                    // 00000000B46C: 9236334E
	s_add_u32 s69, s69, s54                                    // 00000000B470: 80453645
	s_mov_b32 s70, s69                                         // 00000000B474: BEC60045
	s_mul_i32 s54, s78, 4                                      // 00000000B478: 9236844E
	s_add_u32 s71, s71, s54                                    // 00000000B47C: 80473647
	s_add_u32 s12, s86, s69                                    // 00000000B480: 800C4556
	s_addc_u32 s13, s87, 0                                     // 00000000B484: 820D8057
	s_add_u32 s16, s88, s70                                    // 00000000B488: 80104658
	s_addc_u32 s17, s89, 0                                     // 00000000B48C: 82118059
	s_add_u32 s20, s90, s71                                    // 00000000B490: 8014475A
	s_addc_u32 s21, s91, 0                                     // 00000000B494: 8215805B
	s_add_u32 s24, s92, s71                                    // 00000000B498: 8018475C
	s_addc_u32 s25, s93, 0                                     // 00000000B49C: 8219805D
	v_mfma_f32_16x16x32_fp8_fp8 v[4:7], a[64:65], a[0:1], 0    // 00000000B4A0: D3F30004 1A020140
	v_mfma_f32_16x16x32_fp8_fp8 v[4:7], a[66:67], a[2:3], v[4:7]// 00000000B4A8: D3F30004 1C120542
	v_mfma_f32_16x16x32_fp8_fp8 v[4:7], a[68:69], a[4:5], v[4:7]// 00000000B4B0: D3F30004 1C120944
	buffer_load_dwordx4 a[32:35], v225, s[12:15], 0 offen      // 00000000B4B8: E05C1000 808320E1
	v_mfma_f32_16x16x32_fp8_fp8 v[4:7], a[70:71], a[6:7], v[4:7]// 00000000B4C0: D3F30004 1C120D46
	v_mfma_f32_16x16x32_fp8_fp8 v[8:11], a[72:73], a[0:1], 0   // 00000000B4C8: D3F30008 1A020148
	v_mfma_f32_16x16x32_fp8_fp8 v[8:11], a[74:75], a[2:3], v[8:11]// 00000000B4D0: D3F30008 1C22054A
	v_mfma_f32_16x16x32_fp8_fp8 v[8:11], a[76:77], a[4:5], v[8:11]// 00000000B4D8: D3F30008 1C22094C
	buffer_load_dwordx4 a[36:39], v226, s[12:15], 0 offen      // 00000000B4E0: E05C1000 808324E2
	v_mfma_f32_16x16x32_fp8_fp8 v[8:11], a[78:79], a[6:7], v[8:11]// 00000000B4E8: D3F30008 1C220D4E
	v_mfma_f32_16x16x32_fp8_fp8 v[12:15], a[80:81], a[0:1], 0  // 00000000B4F0: D3F3000C 1A020150
	v_mfma_f32_16x16x32_fp8_fp8 v[12:15], a[82:83], a[2:3], v[12:15]// 00000000B4F8: D3F3000C 1C320552
	v_mfma_f32_16x16x32_fp8_fp8 v[12:15], a[84:85], a[4:5], v[12:15]// 00000000B500: D3F3000C 1C320954
	buffer_load_dwordx4 a[40:43], v225, s[12:15], 0 offen offset:1024// 00000000B508: E05C1400 808328E1
	v_mfma_f32_16x16x32_fp8_fp8 v[12:15], a[86:87], a[6:7], v[12:15]// 00000000B510: D3F3000C 1C320D56
	v_mfma_f32_16x16x32_fp8_fp8 v[16:19], a[88:89], a[0:1], 0  // 00000000B518: D3F30010 1A020158
	v_mfma_f32_16x16x32_fp8_fp8 v[16:19], a[90:91], a[2:3], v[16:19]// 00000000B520: D3F30010 1C42055A
	v_mfma_f32_16x16x32_fp8_fp8 v[16:19], a[92:93], a[4:5], v[16:19]// 00000000B528: D3F30010 1C42095C
	buffer_load_dwordx4 a[44:47], v226, s[12:15], 0 offen offset:1024// 00000000B530: E05C1400 80832CE2
	v_mfma_f32_16x16x32_fp8_fp8 v[16:19], a[94:95], a[6:7], v[16:19]// 00000000B538: D3F30010 1C420D5E
	v_mfma_f32_16x16x32_fp8_fp8 v[20:23], a[64:65], a[8:9], 0  // 00000000B540: D3F30014 1A021140
	v_mfma_f32_16x16x32_fp8_fp8 v[20:23], a[66:67], a[10:11], v[20:23]// 00000000B548: D3F30014 1C521542
	v_mfma_f32_16x16x32_fp8_fp8 v[20:23], a[68:69], a[12:13], v[20:23]// 00000000B550: D3F30014 1C521944
	buffer_load_dwordx4 a[48:51], v225, s[12:15], 0 offen offset:2048// 00000000B558: E05C1800 808330E1
	v_mfma_f32_16x16x32_fp8_fp8 v[20:23], a[70:71], a[14:15], v[20:23]// 00000000B560: D3F30014 1C521D46
	v_mfma_f32_16x16x32_fp8_fp8 v[24:27], a[72:73], a[8:9], 0  // 00000000B568: D3F30018 1A021148
	v_mfma_f32_16x16x32_fp8_fp8 v[24:27], a[74:75], a[10:11], v[24:27]// 00000000B570: D3F30018 1C62154A
	v_mfma_f32_16x16x32_fp8_fp8 v[24:27], a[76:77], a[12:13], v[24:27]// 00000000B578: D3F30018 1C62194C
	buffer_load_dwordx4 a[52:55], v226, s[12:15], 0 offen offset:2048// 00000000B580: E05C1800 808334E2
	v_mfma_f32_16x16x32_fp8_fp8 v[24:27], a[78:79], a[14:15], v[24:27]// 00000000B588: D3F30018 1C621D4E
	v_mfma_f32_16x16x32_fp8_fp8 v[28:31], a[80:81], a[8:9], 0  // 00000000B590: D3F3001C 1A021150
	v_mfma_f32_16x16x32_fp8_fp8 v[28:31], a[82:83], a[10:11], v[28:31]// 00000000B598: D3F3001C 1C721552
	v_mfma_f32_16x16x32_fp8_fp8 v[28:31], a[84:85], a[12:13], v[28:31]// 00000000B5A0: D3F3001C 1C721954
	buffer_load_dwordx4 a[56:59], v225, s[12:15], 0 offen offset:3072// 00000000B5A8: E05C1C00 808338E1
	v_mfma_f32_16x16x32_fp8_fp8 v[28:31], a[86:87], a[14:15], v[28:31]// 00000000B5B0: D3F3001C 1C721D56
	v_mfma_f32_16x16x32_fp8_fp8 v[32:35], a[88:89], a[8:9], 0  // 00000000B5B8: D3F30020 1A021158
	v_mfma_f32_16x16x32_fp8_fp8 v[32:35], a[90:91], a[10:11], v[32:35]// 00000000B5C0: D3F30020 1C82155A
	v_mfma_f32_16x16x32_fp8_fp8 v[32:35], a[92:93], a[12:13], v[32:35]// 00000000B5C8: D3F30020 1C82195C
	buffer_load_dwordx4 a[60:63], v226, s[12:15], 0 offen offset:3072// 00000000B5D0: E05C1C00 80833CE2
	v_mfma_f32_16x16x32_fp8_fp8 v[32:35], a[94:95], a[14:15], v[32:35]// 00000000B5D8: D3F30020 1C821D5E
	v_mfma_f32_16x16x32_fp8_fp8 v[36:39], a[64:65], a[16:17], 0// 00000000B5E0: D3F30024 1A022140
	v_mfma_f32_16x16x32_fp8_fp8 v[36:39], a[66:67], a[18:19], v[36:39]// 00000000B5E8: D3F30024 1C922542
	v_mfma_f32_16x16x32_fp8_fp8 v[36:39], a[68:69], a[20:21], v[36:39]// 00000000B5F0: D3F30024 1C922944
	v_mfma_f32_16x16x32_fp8_fp8 v[36:39], a[70:71], a[22:23], v[36:39]// 00000000B5F8: D3F30024 1C922D46
	v_mfma_f32_16x16x32_fp8_fp8 v[40:43], a[72:73], a[16:17], 0// 00000000B600: D3F30028 1A022148
	v_mfma_f32_16x16x32_fp8_fp8 v[40:43], a[74:75], a[18:19], v[40:43]// 00000000B608: D3F30028 1CA2254A
	v_mfma_f32_16x16x32_fp8_fp8 v[40:43], a[76:77], a[20:21], v[40:43]// 00000000B610: D3F30028 1CA2294C
	v_mfma_f32_16x16x32_fp8_fp8 v[40:43], a[78:79], a[22:23], v[40:43]// 00000000B618: D3F30028 1CA22D4E
	v_mfma_f32_16x16x32_fp8_fp8 v[44:47], a[80:81], a[16:17], 0// 00000000B620: D3F3002C 1A022150
	v_mfma_f32_16x16x32_fp8_fp8 v[44:47], a[82:83], a[18:19], v[44:47]// 00000000B628: D3F3002C 1CB22552
	v_mfma_f32_16x16x32_fp8_fp8 v[44:47], a[84:85], a[20:21], v[44:47]// 00000000B630: D3F3002C 1CB22954
	v_mfma_f32_16x16x32_fp8_fp8 v[44:47], a[86:87], a[22:23], v[44:47]// 00000000B638: D3F3002C 1CB22D56
	v_mfma_f32_16x16x32_fp8_fp8 v[48:51], a[88:89], a[16:17], 0// 00000000B640: D3F30030 1A022158
	v_mfma_f32_16x16x32_fp8_fp8 v[48:51], a[90:91], a[18:19], v[48:51]// 00000000B648: D3F30030 1CC2255A
	v_mfma_f32_16x16x32_fp8_fp8 v[48:51], a[92:93], a[20:21], v[48:51]// 00000000B650: D3F30030 1CC2295C
	v_mfma_f32_16x16x32_fp8_fp8 v[48:51], a[94:95], a[22:23], v[48:51]// 00000000B658: D3F30030 1CC22D5E
	v_mfma_f32_16x16x32_fp8_fp8 v[52:55], a[64:65], a[24:25], 0// 00000000B660: D3F30034 1A023140
	v_mfma_f32_16x16x32_fp8_fp8 v[52:55], a[66:67], a[26:27], v[52:55]// 00000000B668: D3F30034 1CD23542
	v_mfma_f32_16x16x32_fp8_fp8 v[52:55], a[68:69], a[28:29], v[52:55]// 00000000B670: D3F30034 1CD23944
	v_mfma_f32_16x16x32_fp8_fp8 v[52:55], a[70:71], a[30:31], v[52:55]// 00000000B678: D3F30034 1CD23D46
	v_mfma_f32_16x16x32_fp8_fp8 v[56:59], a[72:73], a[24:25], 0// 00000000B680: D3F30038 1A023148
	v_mfma_f32_16x16x32_fp8_fp8 v[56:59], a[74:75], a[26:27], v[56:59]// 00000000B688: D3F30038 1CE2354A
	v_mfma_f32_16x16x32_fp8_fp8 v[56:59], a[76:77], a[28:29], v[56:59]// 00000000B690: D3F30038 1CE2394C
	v_mfma_f32_16x16x32_fp8_fp8 v[56:59], a[78:79], a[30:31], v[56:59]// 00000000B698: D3F30038 1CE23D4E
	v_mfma_f32_16x16x32_fp8_fp8 v[60:63], a[80:81], a[24:25], 0// 00000000B6A0: D3F3003C 1A023150
	v_mfma_f32_16x16x32_fp8_fp8 v[60:63], a[82:83], a[26:27], v[60:63]// 00000000B6A8: D3F3003C 1CF23552
	v_mfma_f32_16x16x32_fp8_fp8 v[60:63], a[84:85], a[28:29], v[60:63]// 00000000B6B0: D3F3003C 1CF23954
	v_mfma_f32_16x16x32_fp8_fp8 v[60:63], a[86:87], a[30:31], v[60:63]// 00000000B6B8: D3F3003C 1CF23D56
	v_mfma_f32_16x16x32_fp8_fp8 v[64:67], a[88:89], a[24:25], 0// 00000000B6C0: D3F30040 1A023158
	v_mfma_f32_16x16x32_fp8_fp8 v[64:67], a[90:91], a[26:27], v[64:67]// 00000000B6C8: D3F30040 1D02355A
	v_mfma_f32_16x16x32_fp8_fp8 v[64:67], a[92:93], a[28:29], v[64:67]// 00000000B6D0: D3F30040 1D02395C
	v_mfma_f32_16x16x32_fp8_fp8 v[64:67], a[94:95], a[30:31], v[64:67]// 00000000B6D8: D3F30040 1D023D5E
	s_waitcnt vmcnt(16)                                        // 00000000B6E0: BF8C4F70
	v_pk_mul_f32 v[4:5], v[132:133], v[4:5]                    // 00000000B6E4: D3B14004 18020984
	v_pk_mul_f32 v[6:7], v[132:133], v[6:7]                    // 00000000B6EC: D3B14006 18020D84
	v_mul_f32_dpp v4, v141, v4 row_newbcast:0 row_mask:0xf bank_mask:0xf// 00000000B6F4: 0A0808FA FF01508D
	v_mul_f32_dpp v5, v141, v5 row_newbcast:1 row_mask:0xf bank_mask:0xf// 00000000B6FC: 0A0A0AFA FF01518D
	v_mul_f32_dpp v6, v141, v6 row_newbcast:2 row_mask:0xf bank_mask:0xf// 00000000B704: 0A0C0CFA FF01528D
	v_mul_f32_dpp v7, v141, v7 row_newbcast:3 row_mask:0xf bank_mask:0xf// 00000000B70C: 0A0E0EFA FF01538D
	v_pk_mul_f32 v[8:9], v[132:133], v[8:9]                    // 00000000B714: D3B14008 18021184
	v_pk_mul_f32 v[10:11], v[132:133], v[10:11]                // 00000000B71C: D3B1400A 18021584
	v_mul_f32_dpp v8, v141, v8 row_newbcast:4 row_mask:0xf bank_mask:0xf// 00000000B724: 0A1010FA FF01548D
	v_mul_f32_dpp v9, v141, v9 row_newbcast:5 row_mask:0xf bank_mask:0xf// 00000000B72C: 0A1212FA FF01558D
	v_mul_f32_dpp v10, v141, v10 row_newbcast:6 row_mask:0xf bank_mask:0xf// 00000000B734: 0A1414FA FF01568D
	v_mul_f32_dpp v11, v141, v11 row_newbcast:7 row_mask:0xf bank_mask:0xf// 00000000B73C: 0A1616FA FF01578D
	v_pk_mul_f32 v[12:13], v[132:133], v[12:13]                // 00000000B744: D3B1400C 18021984
	v_pk_mul_f32 v[14:15], v[132:133], v[14:15]                // 00000000B74C: D3B1400E 18021D84
	v_mul_f32_dpp v12, v141, v12 row_newbcast:8 row_mask:0xf bank_mask:0xf// 00000000B754: 0A1818FA FF01588D
	v_mul_f32_dpp v13, v141, v13 row_newbcast:9 row_mask:0xf bank_mask:0xf// 00000000B75C: 0A1A1AFA FF01598D
	v_mul_f32_dpp v14, v141, v14 row_newbcast:10 row_mask:0xf bank_mask:0xf// 00000000B764: 0A1C1CFA FF015A8D
	v_mul_f32_dpp v15, v141, v15 row_newbcast:11 row_mask:0xf bank_mask:0xf// 00000000B76C: 0A1E1EFA FF015B8D
	v_pk_mul_f32 v[16:17], v[132:133], v[16:17]                // 00000000B774: D3B14010 18022184
	v_pk_mul_f32 v[18:19], v[132:133], v[18:19]                // 00000000B77C: D3B14012 18022584
	v_mul_f32_dpp v16, v141, v16 row_newbcast:12 row_mask:0xf bank_mask:0xf// 00000000B784: 0A2020FA FF015C8D
	v_mul_f32_dpp v17, v141, v17 row_newbcast:13 row_mask:0xf bank_mask:0xf// 00000000B78C: 0A2222FA FF015D8D
	v_mul_f32_dpp v18, v141, v18 row_newbcast:14 row_mask:0xf bank_mask:0xf// 00000000B794: 0A2424FA FF015E8D
	v_mul_f32_dpp v19, v141, v19 row_newbcast:15 row_mask:0xf bank_mask:0xf// 00000000B79C: 0A2626FA FF015F8D
	v_pk_mul_f32 v[20:21], v[134:135], v[20:21]                // 00000000B7A4: D3B14014 18022986
	v_pk_mul_f32 v[22:23], v[134:135], v[22:23]                // 00000000B7AC: D3B14016 18022D86
	v_mul_f32_dpp v20, v141, v20 row_newbcast:0 row_mask:0xf bank_mask:0xf// 00000000B7B4: 0A2828FA FF01508D
	v_mul_f32_dpp v21, v141, v21 row_newbcast:1 row_mask:0xf bank_mask:0xf// 00000000B7BC: 0A2A2AFA FF01518D
	v_mul_f32_dpp v22, v141, v22 row_newbcast:2 row_mask:0xf bank_mask:0xf// 00000000B7C4: 0A2C2CFA FF01528D
	v_mul_f32_dpp v23, v141, v23 row_newbcast:3 row_mask:0xf bank_mask:0xf// 00000000B7CC: 0A2E2EFA FF01538D
	v_pk_mul_f32 v[24:25], v[134:135], v[24:25]                // 00000000B7D4: D3B14018 18023186
	v_pk_mul_f32 v[26:27], v[134:135], v[26:27]                // 00000000B7DC: D3B1401A 18023586
	v_mul_f32_dpp v24, v141, v24 row_newbcast:4 row_mask:0xf bank_mask:0xf// 00000000B7E4: 0A3030FA FF01548D
	v_mul_f32_dpp v25, v141, v25 row_newbcast:5 row_mask:0xf bank_mask:0xf// 00000000B7EC: 0A3232FA FF01558D
	v_mul_f32_dpp v26, v141, v26 row_newbcast:6 row_mask:0xf bank_mask:0xf// 00000000B7F4: 0A3434FA FF01568D
	v_mul_f32_dpp v27, v141, v27 row_newbcast:7 row_mask:0xf bank_mask:0xf// 00000000B7FC: 0A3636FA FF01578D
	v_pk_mul_f32 v[28:29], v[134:135], v[28:29]                // 00000000B804: D3B1401C 18023986
	v_pk_mul_f32 v[30:31], v[134:135], v[30:31]                // 00000000B80C: D3B1401E 18023D86
	v_mul_f32_dpp v28, v141, v28 row_newbcast:8 row_mask:0xf bank_mask:0xf// 00000000B814: 0A3838FA FF01588D
	v_mul_f32_dpp v29, v141, v29 row_newbcast:9 row_mask:0xf bank_mask:0xf// 00000000B81C: 0A3A3AFA FF01598D
	v_mul_f32_dpp v30, v141, v30 row_newbcast:10 row_mask:0xf bank_mask:0xf// 00000000B824: 0A3C3CFA FF015A8D
	v_mul_f32_dpp v31, v141, v31 row_newbcast:11 row_mask:0xf bank_mask:0xf// 00000000B82C: 0A3E3EFA FF015B8D
	v_pk_mul_f32 v[32:33], v[134:135], v[32:33]                // 00000000B834: D3B14020 18024186
	v_pk_mul_f32 v[34:35], v[134:135], v[34:35]                // 00000000B83C: D3B14022 18024586
	v_mul_f32_dpp v32, v141, v32 row_newbcast:12 row_mask:0xf bank_mask:0xf// 00000000B844: 0A4040FA FF015C8D
	v_mul_f32_dpp v33, v141, v33 row_newbcast:13 row_mask:0xf bank_mask:0xf// 00000000B84C: 0A4242FA FF015D8D
	v_mul_f32_dpp v34, v141, v34 row_newbcast:14 row_mask:0xf bank_mask:0xf// 00000000B854: 0A4444FA FF015E8D
	v_mul_f32_dpp v35, v141, v35 row_newbcast:15 row_mask:0xf bank_mask:0xf// 00000000B85C: 0A4646FA FF015F8D
	v_pk_mul_f32 v[36:37], v[136:137], v[36:37]                // 00000000B864: D3B14024 18024988
	v_pk_mul_f32 v[38:39], v[136:137], v[38:39]                // 00000000B86C: D3B14026 18024D88
	v_mul_f32_dpp v36, v141, v36 row_newbcast:0 row_mask:0xf bank_mask:0xf// 00000000B874: 0A4848FA FF01508D
	v_mul_f32_dpp v37, v141, v37 row_newbcast:1 row_mask:0xf bank_mask:0xf// 00000000B87C: 0A4A4AFA FF01518D
	v_mul_f32_dpp v38, v141, v38 row_newbcast:2 row_mask:0xf bank_mask:0xf// 00000000B884: 0A4C4CFA FF01528D
	v_mul_f32_dpp v39, v141, v39 row_newbcast:3 row_mask:0xf bank_mask:0xf// 00000000B88C: 0A4E4EFA FF01538D
	v_pk_mul_f32 v[40:41], v[136:137], v[40:41]                // 00000000B894: D3B14028 18025188
	v_pk_mul_f32 v[42:43], v[136:137], v[42:43]                // 00000000B89C: D3B1402A 18025588
	v_mul_f32_dpp v40, v141, v40 row_newbcast:4 row_mask:0xf bank_mask:0xf// 00000000B8A4: 0A5050FA FF01548D
	v_mul_f32_dpp v41, v141, v41 row_newbcast:5 row_mask:0xf bank_mask:0xf// 00000000B8AC: 0A5252FA FF01558D
	v_mul_f32_dpp v42, v141, v42 row_newbcast:6 row_mask:0xf bank_mask:0xf// 00000000B8B4: 0A5454FA FF01568D
	v_mul_f32_dpp v43, v141, v43 row_newbcast:7 row_mask:0xf bank_mask:0xf// 00000000B8BC: 0A5656FA FF01578D
	v_pk_mul_f32 v[44:45], v[136:137], v[44:45]                // 00000000B8C4: D3B1402C 18025988
	v_pk_mul_f32 v[46:47], v[136:137], v[46:47]                // 00000000B8CC: D3B1402E 18025D88
	v_mul_f32_dpp v44, v141, v44 row_newbcast:8 row_mask:0xf bank_mask:0xf// 00000000B8D4: 0A5858FA FF01588D
	v_mul_f32_dpp v45, v141, v45 row_newbcast:9 row_mask:0xf bank_mask:0xf// 00000000B8DC: 0A5A5AFA FF01598D
	v_mul_f32_dpp v46, v141, v46 row_newbcast:10 row_mask:0xf bank_mask:0xf// 00000000B8E4: 0A5C5CFA FF015A8D
	v_mul_f32_dpp v47, v141, v47 row_newbcast:11 row_mask:0xf bank_mask:0xf// 00000000B8EC: 0A5E5EFA FF015B8D
	v_pk_mul_f32 v[48:49], v[136:137], v[48:49]                // 00000000B8F4: D3B14030 18026188
	v_pk_mul_f32 v[50:51], v[136:137], v[50:51]                // 00000000B8FC: D3B14032 18026588
	v_mul_f32_dpp v48, v141, v48 row_newbcast:12 row_mask:0xf bank_mask:0xf// 00000000B904: 0A6060FA FF015C8D
	v_mul_f32_dpp v49, v141, v49 row_newbcast:13 row_mask:0xf bank_mask:0xf// 00000000B90C: 0A6262FA FF015D8D
	v_mul_f32_dpp v50, v141, v50 row_newbcast:14 row_mask:0xf bank_mask:0xf// 00000000B914: 0A6464FA FF015E8D
	v_mul_f32_dpp v51, v141, v51 row_newbcast:15 row_mask:0xf bank_mask:0xf// 00000000B91C: 0A6666FA FF015F8D
	v_pk_mul_f32 v[52:53], v[138:139], v[52:53]                // 00000000B924: D3B14034 1802698A
	v_pk_mul_f32 v[54:55], v[138:139], v[54:55]                // 00000000B92C: D3B14036 18026D8A
	v_mul_f32_dpp v52, v141, v52 row_newbcast:0 row_mask:0xf bank_mask:0xf// 00000000B934: 0A6868FA FF01508D
	v_mul_f32_dpp v53, v141, v53 row_newbcast:1 row_mask:0xf bank_mask:0xf// 00000000B93C: 0A6A6AFA FF01518D
	v_mul_f32_dpp v54, v141, v54 row_newbcast:2 row_mask:0xf bank_mask:0xf// 00000000B944: 0A6C6CFA FF01528D
	v_mul_f32_dpp v55, v141, v55 row_newbcast:3 row_mask:0xf bank_mask:0xf// 00000000B94C: 0A6E6EFA FF01538D
	v_pk_mul_f32 v[56:57], v[138:139], v[56:57]                // 00000000B954: D3B14038 1802718A
	v_pk_mul_f32 v[58:59], v[138:139], v[58:59]                // 00000000B95C: D3B1403A 1802758A
	v_mul_f32_dpp v56, v141, v56 row_newbcast:4 row_mask:0xf bank_mask:0xf// 00000000B964: 0A7070FA FF01548D
	v_mul_f32_dpp v57, v141, v57 row_newbcast:5 row_mask:0xf bank_mask:0xf// 00000000B96C: 0A7272FA FF01558D
	v_mul_f32_dpp v58, v141, v58 row_newbcast:6 row_mask:0xf bank_mask:0xf// 00000000B974: 0A7474FA FF01568D
	v_mul_f32_dpp v59, v141, v59 row_newbcast:7 row_mask:0xf bank_mask:0xf// 00000000B97C: 0A7676FA FF01578D
	v_pk_mul_f32 v[60:61], v[138:139], v[60:61]                // 00000000B984: D3B1403C 1802798A
	v_pk_mul_f32 v[62:63], v[138:139], v[62:63]                // 00000000B98C: D3B1403E 18027D8A
	v_mul_f32_dpp v60, v141, v60 row_newbcast:8 row_mask:0xf bank_mask:0xf// 00000000B994: 0A7878FA FF01588D
	v_mul_f32_dpp v61, v141, v61 row_newbcast:9 row_mask:0xf bank_mask:0xf// 00000000B99C: 0A7A7AFA FF01598D
	v_mul_f32_dpp v62, v141, v62 row_newbcast:10 row_mask:0xf bank_mask:0xf// 00000000B9A4: 0A7C7CFA FF015A8D
	v_mul_f32_dpp v63, v141, v63 row_newbcast:11 row_mask:0xf bank_mask:0xf// 00000000B9AC: 0A7E7EFA FF015B8D
	v_pk_mul_f32 v[64:65], v[138:139], v[64:65]                // 00000000B9B4: D3B14040 1802818A
	v_pk_mul_f32 v[66:67], v[138:139], v[66:67]                // 00000000B9BC: D3B14042 1802858A
	v_mul_f32_dpp v64, v141, v64 row_newbcast:12 row_mask:0xf bank_mask:0xf// 00000000B9C4: 0A8080FA FF015C8D
	v_mul_f32_dpp v65, v141, v65 row_newbcast:13 row_mask:0xf bank_mask:0xf// 00000000B9CC: 0A8282FA FF015D8D
	v_mul_f32_dpp v66, v141, v66 row_newbcast:14 row_mask:0xf bank_mask:0xf// 00000000B9D4: 0A8484FA FF015E8D
	v_mul_f32_dpp v67, v141, v67 row_newbcast:15 row_mask:0xf bank_mask:0xf// 00000000B9DC: 0A8686FA FF015F8D
	v_add_u32_e32 v196, s64, v215                              // 00000000B9E4: 6989AE40
	v_add_u32_e32 v197, 0, v196                                // 00000000B9E8: 698B8880
	v_cmp_lt_u32_e64 s[98:99], v197, v211                      // 00000000B9EC: D0C90062 0003A7C5
	s_nop 0                                                    // 00000000B9F4: BF800000
	v_cndmask_b32_e64 v4, v216, v4, s[98:99]                   // 00000000B9F8: D1000004 018A09D8
	v_add_u32_e32 v197, 1, v196                                // 00000000BA00: 698B8881
	v_cmp_lt_u32_e64 s[98:99], v197, v211                      // 00000000BA04: D0C90062 0003A7C5
	s_nop 0                                                    // 00000000BA0C: BF800000
	v_cndmask_b32_e64 v5, v216, v5, s[98:99]                   // 00000000BA10: D1000005 018A0BD8
	v_add_u32_e32 v197, 2, v196                                // 00000000BA18: 698B8882
	v_cmp_lt_u32_e64 s[98:99], v197, v211                      // 00000000BA1C: D0C90062 0003A7C5
	s_nop 0                                                    // 00000000BA24: BF800000
	v_cndmask_b32_e64 v6, v216, v6, s[98:99]                   // 00000000BA28: D1000006 018A0DD8
	v_add_u32_e32 v197, 3, v196                                // 00000000BA30: 698B8883
	v_cmp_lt_u32_e64 s[98:99], v197, v211                      // 00000000BA34: D0C90062 0003A7C5
	s_nop 0                                                    // 00000000BA3C: BF800000
	v_cndmask_b32_e64 v7, v216, v7, s[98:99]                   // 00000000BA40: D1000007 018A0FD8
	v_add_u32_e32 v197, 64, v196                               // 00000000BA48: 698B88C0
	v_cmp_lt_u32_e64 s[98:99], v197, v211                      // 00000000BA4C: D0C90062 0003A7C5
	s_nop 0                                                    // 00000000BA54: BF800000
	v_cndmask_b32_e64 v8, v216, v8, s[98:99]                   // 00000000BA58: D1000008 018A11D8
	v_add_u32_e32 v197, 0x41, v196                             // 00000000BA60: 698B88FF 00000041
	v_cmp_lt_u32_e64 s[98:99], v197, v211                      // 00000000BA68: D0C90062 0003A7C5
	s_nop 0                                                    // 00000000BA70: BF800000
	v_cndmask_b32_e64 v9, v216, v9, s[98:99]                   // 00000000BA74: D1000009 018A13D8
	v_add_u32_e32 v197, 0x42, v196                             // 00000000BA7C: 698B88FF 00000042
	v_cmp_lt_u32_e64 s[98:99], v197, v211                      // 00000000BA84: D0C90062 0003A7C5
	s_nop 0                                                    // 00000000BA8C: BF800000
	v_cndmask_b32_e64 v10, v216, v10, s[98:99]                 // 00000000BA90: D100000A 018A15D8
	v_add_u32_e32 v197, 0x43, v196                             // 00000000BA98: 698B88FF 00000043
	v_cmp_lt_u32_e64 s[98:99], v197, v211                      // 00000000BAA0: D0C90062 0003A7C5
	s_nop 0                                                    // 00000000BAA8: BF800000
	v_cndmask_b32_e64 v11, v216, v11, s[98:99]                 // 00000000BAAC: D100000B 018A17D8
	v_add_u32_e32 v197, 0x80, v196                             // 00000000BAB4: 698B88FF 00000080
	v_cmp_lt_u32_e64 s[98:99], v197, v211                      // 00000000BABC: D0C90062 0003A7C5
	s_nop 0                                                    // 00000000BAC4: BF800000
	v_cndmask_b32_e64 v12, v216, v12, s[98:99]                 // 00000000BAC8: D100000C 018A19D8
	v_add_u32_e32 v197, 0x81, v196                             // 00000000BAD0: 698B88FF 00000081
	v_cmp_lt_u32_e64 s[98:99], v197, v211                      // 00000000BAD8: D0C90062 0003A7C5
	s_nop 0                                                    // 00000000BAE0: BF800000
	v_cndmask_b32_e64 v13, v216, v13, s[98:99]                 // 00000000BAE4: D100000D 018A1BD8
	v_add_u32_e32 v197, 0x82, v196                             // 00000000BAEC: 698B88FF 00000082
	v_cmp_lt_u32_e64 s[98:99], v197, v211                      // 00000000BAF4: D0C90062 0003A7C5
	s_nop 0                                                    // 00000000BAFC: BF800000
	v_cndmask_b32_e64 v14, v216, v14, s[98:99]                 // 00000000BB00: D100000E 018A1DD8
	v_add_u32_e32 v197, 0x83, v196                             // 00000000BB08: 698B88FF 00000083
	v_cmp_lt_u32_e64 s[98:99], v197, v211                      // 00000000BB10: D0C90062 0003A7C5
	s_nop 0                                                    // 00000000BB18: BF800000
	v_cndmask_b32_e64 v15, v216, v15, s[98:99]                 // 00000000BB1C: D100000F 018A1FD8
	v_add_u32_e32 v197, 0xc0, v196                             // 00000000BB24: 698B88FF 000000C0
	v_cmp_lt_u32_e64 s[98:99], v197, v211                      // 00000000BB2C: D0C90062 0003A7C5
	s_nop 0                                                    // 00000000BB34: BF800000
	v_cndmask_b32_e64 v16, v216, v16, s[98:99]                 // 00000000BB38: D1000010 018A21D8
	v_add_u32_e32 v197, 0xc1, v196                             // 00000000BB40: 698B88FF 000000C1
	v_cmp_lt_u32_e64 s[98:99], v197, v211                      // 00000000BB48: D0C90062 0003A7C5
	s_nop 0                                                    // 00000000BB50: BF800000
	v_cndmask_b32_e64 v17, v216, v17, s[98:99]                 // 00000000BB54: D1000011 018A23D8
	v_add_u32_e32 v197, 0xc2, v196                             // 00000000BB5C: 698B88FF 000000C2
	v_cmp_lt_u32_e64 s[98:99], v197, v211                      // 00000000BB64: D0C90062 0003A7C5
	s_nop 0                                                    // 00000000BB6C: BF800000
	v_cndmask_b32_e64 v18, v216, v18, s[98:99]                 // 00000000BB70: D1000012 018A25D8
	v_add_u32_e32 v197, 0xc3, v196                             // 00000000BB78: 698B88FF 000000C3
	v_cmp_lt_u32_e64 s[98:99], v197, v211                      // 00000000BB80: D0C90062 0003A7C5
	s_nop 0                                                    // 00000000BB88: BF800000
	v_cndmask_b32_e64 v19, v216, v19, s[98:99]                 // 00000000BB8C: D1000013 018A27D8
	v_add_u32_e32 v197, 0, v196                                // 00000000BB94: 698B8880
	v_cmp_lt_u32_e64 s[98:99], v197, v212                      // 00000000BB98: D0C90062 0003A9C5
	s_nop 0                                                    // 00000000BBA0: BF800000
	v_cndmask_b32_e64 v20, v216, v20, s[98:99]                 // 00000000BBA4: D1000014 018A29D8
	v_add_u32_e32 v197, 1, v196                                // 00000000BBAC: 698B8881
	v_cmp_lt_u32_e64 s[98:99], v197, v212                      // 00000000BBB0: D0C90062 0003A9C5
	s_nop 0                                                    // 00000000BBB8: BF800000
	v_cndmask_b32_e64 v21, v216, v21, s[98:99]                 // 00000000BBBC: D1000015 018A2BD8
	v_add_u32_e32 v197, 2, v196                                // 00000000BBC4: 698B8882
	v_cmp_lt_u32_e64 s[98:99], v197, v212                      // 00000000BBC8: D0C90062 0003A9C5
	s_nop 0                                                    // 00000000BBD0: BF800000
	v_cndmask_b32_e64 v22, v216, v22, s[98:99]                 // 00000000BBD4: D1000016 018A2DD8
	v_add_u32_e32 v197, 3, v196                                // 00000000BBDC: 698B8883
	v_cmp_lt_u32_e64 s[98:99], v197, v212                      // 00000000BBE0: D0C90062 0003A9C5
	s_nop 0                                                    // 00000000BBE8: BF800000
	v_cndmask_b32_e64 v23, v216, v23, s[98:99]                 // 00000000BBEC: D1000017 018A2FD8
	v_add_u32_e32 v197, 64, v196                               // 00000000BBF4: 698B88C0
	v_cmp_lt_u32_e64 s[98:99], v197, v212                      // 00000000BBF8: D0C90062 0003A9C5
	s_nop 0                                                    // 00000000BC00: BF800000
	v_cndmask_b32_e64 v24, v216, v24, s[98:99]                 // 00000000BC04: D1000018 018A31D8
	v_add_u32_e32 v197, 0x41, v196                             // 00000000BC0C: 698B88FF 00000041
	v_cmp_lt_u32_e64 s[98:99], v197, v212                      // 00000000BC14: D0C90062 0003A9C5
	s_nop 0                                                    // 00000000BC1C: BF800000
	v_cndmask_b32_e64 v25, v216, v25, s[98:99]                 // 00000000BC20: D1000019 018A33D8
	v_add_u32_e32 v197, 0x42, v196                             // 00000000BC28: 698B88FF 00000042
	v_cmp_lt_u32_e64 s[98:99], v197, v212                      // 00000000BC30: D0C90062 0003A9C5
	s_nop 0                                                    // 00000000BC38: BF800000
	v_cndmask_b32_e64 v26, v216, v26, s[98:99]                 // 00000000BC3C: D100001A 018A35D8
	v_add_u32_e32 v197, 0x43, v196                             // 00000000BC44: 698B88FF 00000043
	v_cmp_lt_u32_e64 s[98:99], v197, v212                      // 00000000BC4C: D0C90062 0003A9C5
	s_nop 0                                                    // 00000000BC54: BF800000
	v_cndmask_b32_e64 v27, v216, v27, s[98:99]                 // 00000000BC58: D100001B 018A37D8
	v_add_u32_e32 v197, 0x80, v196                             // 00000000BC60: 698B88FF 00000080
	v_cmp_lt_u32_e64 s[98:99], v197, v212                      // 00000000BC68: D0C90062 0003A9C5
	s_nop 0                                                    // 00000000BC70: BF800000
	v_cndmask_b32_e64 v28, v216, v28, s[98:99]                 // 00000000BC74: D100001C 018A39D8
	v_add_u32_e32 v197, 0x81, v196                             // 00000000BC7C: 698B88FF 00000081
	v_cmp_lt_u32_e64 s[98:99], v197, v212                      // 00000000BC84: D0C90062 0003A9C5
	s_nop 0                                                    // 00000000BC8C: BF800000
	v_cndmask_b32_e64 v29, v216, v29, s[98:99]                 // 00000000BC90: D100001D 018A3BD8
	v_add_u32_e32 v197, 0x82, v196                             // 00000000BC98: 698B88FF 00000082
	v_cmp_lt_u32_e64 s[98:99], v197, v212                      // 00000000BCA0: D0C90062 0003A9C5
	s_nop 0                                                    // 00000000BCA8: BF800000
	v_cndmask_b32_e64 v30, v216, v30, s[98:99]                 // 00000000BCAC: D100001E 018A3DD8
	v_add_u32_e32 v197, 0x83, v196                             // 00000000BCB4: 698B88FF 00000083
	v_cmp_lt_u32_e64 s[98:99], v197, v212                      // 00000000BCBC: D0C90062 0003A9C5
	s_nop 0                                                    // 00000000BCC4: BF800000
	v_cndmask_b32_e64 v31, v216, v31, s[98:99]                 // 00000000BCC8: D100001F 018A3FD8
	v_add_u32_e32 v197, 0xc0, v196                             // 00000000BCD0: 698B88FF 000000C0
	v_cmp_lt_u32_e64 s[98:99], v197, v212                      // 00000000BCD8: D0C90062 0003A9C5
	s_nop 0                                                    // 00000000BCE0: BF800000
	v_cndmask_b32_e64 v32, v216, v32, s[98:99]                 // 00000000BCE4: D1000020 018A41D8
	v_add_u32_e32 v197, 0xc1, v196                             // 00000000BCEC: 698B88FF 000000C1
	v_cmp_lt_u32_e64 s[98:99], v197, v212                      // 00000000BCF4: D0C90062 0003A9C5
	s_nop 0                                                    // 00000000BCFC: BF800000
	v_cndmask_b32_e64 v33, v216, v33, s[98:99]                 // 00000000BD00: D1000021 018A43D8
	v_add_u32_e32 v197, 0xc2, v196                             // 00000000BD08: 698B88FF 000000C2
	v_cmp_lt_u32_e64 s[98:99], v197, v212                      // 00000000BD10: D0C90062 0003A9C5
	s_nop 0                                                    // 00000000BD18: BF800000
	v_cndmask_b32_e64 v34, v216, v34, s[98:99]                 // 00000000BD1C: D1000022 018A45D8
	v_add_u32_e32 v197, 0xc3, v196                             // 00000000BD24: 698B88FF 000000C3
	v_cmp_lt_u32_e64 s[98:99], v197, v212                      // 00000000BD2C: D0C90062 0003A9C5
	s_nop 0                                                    // 00000000BD34: BF800000
	v_cndmask_b32_e64 v35, v216, v35, s[98:99]                 // 00000000BD38: D1000023 018A47D8
	v_add_u32_e32 v197, 0, v196                                // 00000000BD40: 698B8880
	v_cmp_lt_u32_e64 s[98:99], v197, v213                      // 00000000BD44: D0C90062 0003ABC5
	s_nop 0                                                    // 00000000BD4C: BF800000
	v_cndmask_b32_e64 v36, v216, v36, s[98:99]                 // 00000000BD50: D1000024 018A49D8
	v_add_u32_e32 v197, 1, v196                                // 00000000BD58: 698B8881
	v_cmp_lt_u32_e64 s[98:99], v197, v213                      // 00000000BD5C: D0C90062 0003ABC5
	s_nop 0                                                    // 00000000BD64: BF800000
	v_cndmask_b32_e64 v37, v216, v37, s[98:99]                 // 00000000BD68: D1000025 018A4BD8
	v_add_u32_e32 v197, 2, v196                                // 00000000BD70: 698B8882
	v_cmp_lt_u32_e64 s[98:99], v197, v213                      // 00000000BD74: D0C90062 0003ABC5
	s_nop 0                                                    // 00000000BD7C: BF800000
	v_cndmask_b32_e64 v38, v216, v38, s[98:99]                 // 00000000BD80: D1000026 018A4DD8
	v_add_u32_e32 v197, 3, v196                                // 00000000BD88: 698B8883
	v_cmp_lt_u32_e64 s[98:99], v197, v213                      // 00000000BD8C: D0C90062 0003ABC5
	s_nop 0                                                    // 00000000BD94: BF800000
	v_cndmask_b32_e64 v39, v216, v39, s[98:99]                 // 00000000BD98: D1000027 018A4FD8
	v_add_u32_e32 v197, 64, v196                               // 00000000BDA0: 698B88C0
	v_cmp_lt_u32_e64 s[98:99], v197, v213                      // 00000000BDA4: D0C90062 0003ABC5
	s_nop 0                                                    // 00000000BDAC: BF800000
	v_cndmask_b32_e64 v40, v216, v40, s[98:99]                 // 00000000BDB0: D1000028 018A51D8
	v_add_u32_e32 v197, 0x41, v196                             // 00000000BDB8: 698B88FF 00000041
	v_cmp_lt_u32_e64 s[98:99], v197, v213                      // 00000000BDC0: D0C90062 0003ABC5
	s_nop 0                                                    // 00000000BDC8: BF800000
	v_cndmask_b32_e64 v41, v216, v41, s[98:99]                 // 00000000BDCC: D1000029 018A53D8
	v_add_u32_e32 v197, 0x42, v196                             // 00000000BDD4: 698B88FF 00000042
	v_cmp_lt_u32_e64 s[98:99], v197, v213                      // 00000000BDDC: D0C90062 0003ABC5
	s_nop 0                                                    // 00000000BDE4: BF800000
	v_cndmask_b32_e64 v42, v216, v42, s[98:99]                 // 00000000BDE8: D100002A 018A55D8
	v_add_u32_e32 v197, 0x43, v196                             // 00000000BDF0: 698B88FF 00000043
	v_cmp_lt_u32_e64 s[98:99], v197, v213                      // 00000000BDF8: D0C90062 0003ABC5
	s_nop 0                                                    // 00000000BE00: BF800000
	v_cndmask_b32_e64 v43, v216, v43, s[98:99]                 // 00000000BE04: D100002B 018A57D8
	v_add_u32_e32 v197, 0x80, v196                             // 00000000BE0C: 698B88FF 00000080
	v_cmp_lt_u32_e64 s[98:99], v197, v213                      // 00000000BE14: D0C90062 0003ABC5
	s_nop 0                                                    // 00000000BE1C: BF800000
	v_cndmask_b32_e64 v44, v216, v44, s[98:99]                 // 00000000BE20: D100002C 018A59D8
	v_add_u32_e32 v197, 0x81, v196                             // 00000000BE28: 698B88FF 00000081
	v_cmp_lt_u32_e64 s[98:99], v197, v213                      // 00000000BE30: D0C90062 0003ABC5
	s_nop 0                                                    // 00000000BE38: BF800000
	v_cndmask_b32_e64 v45, v216, v45, s[98:99]                 // 00000000BE3C: D100002D 018A5BD8
	v_add_u32_e32 v197, 0x82, v196                             // 00000000BE44: 698B88FF 00000082
	v_cmp_lt_u32_e64 s[98:99], v197, v213                      // 00000000BE4C: D0C90062 0003ABC5
	s_nop 0                                                    // 00000000BE54: BF800000
	v_cndmask_b32_e64 v46, v216, v46, s[98:99]                 // 00000000BE58: D100002E 018A5DD8
	v_add_u32_e32 v197, 0x83, v196                             // 00000000BE60: 698B88FF 00000083
	v_cmp_lt_u32_e64 s[98:99], v197, v213                      // 00000000BE68: D0C90062 0003ABC5
	s_nop 0                                                    // 00000000BE70: BF800000
	v_cndmask_b32_e64 v47, v216, v47, s[98:99]                 // 00000000BE74: D100002F 018A5FD8
	v_add_u32_e32 v197, 0xc0, v196                             // 00000000BE7C: 698B88FF 000000C0
	v_cmp_lt_u32_e64 s[98:99], v197, v213                      // 00000000BE84: D0C90062 0003ABC5
	s_nop 0                                                    // 00000000BE8C: BF800000
	v_cndmask_b32_e64 v48, v216, v48, s[98:99]                 // 00000000BE90: D1000030 018A61D8
	v_add_u32_e32 v197, 0xc1, v196                             // 00000000BE98: 698B88FF 000000C1
	v_cmp_lt_u32_e64 s[98:99], v197, v213                      // 00000000BEA0: D0C90062 0003ABC5
	s_nop 0                                                    // 00000000BEA8: BF800000
	v_cndmask_b32_e64 v49, v216, v49, s[98:99]                 // 00000000BEAC: D1000031 018A63D8
	v_add_u32_e32 v197, 0xc2, v196                             // 00000000BEB4: 698B88FF 000000C2
	v_cmp_lt_u32_e64 s[98:99], v197, v213                      // 00000000BEBC: D0C90062 0003ABC5
	s_nop 0                                                    // 00000000BEC4: BF800000
	v_cndmask_b32_e64 v50, v216, v50, s[98:99]                 // 00000000BEC8: D1000032 018A65D8
	v_add_u32_e32 v197, 0xc3, v196                             // 00000000BED0: 698B88FF 000000C3
	v_cmp_lt_u32_e64 s[98:99], v197, v213                      // 00000000BED8: D0C90062 0003ABC5
	s_nop 0                                                    // 00000000BEE0: BF800000
	v_cndmask_b32_e64 v51, v216, v51, s[98:99]                 // 00000000BEE4: D1000033 018A67D8
	v_add_u32_e32 v197, 0, v196                                // 00000000BEEC: 698B8880
	v_cmp_lt_u32_e64 s[98:99], v197, v214                      // 00000000BEF0: D0C90062 0003ADC5
	s_nop 0                                                    // 00000000BEF8: BF800000
	v_cndmask_b32_e64 v52, v216, v52, s[98:99]                 // 00000000BEFC: D1000034 018A69D8
	v_add_u32_e32 v197, 1, v196                                // 00000000BF04: 698B8881
	v_cmp_lt_u32_e64 s[98:99], v197, v214                      // 00000000BF08: D0C90062 0003ADC5
	s_nop 0                                                    // 00000000BF10: BF800000
	v_cndmask_b32_e64 v53, v216, v53, s[98:99]                 // 00000000BF14: D1000035 018A6BD8
	v_add_u32_e32 v197, 2, v196                                // 00000000BF1C: 698B8882
	v_cmp_lt_u32_e64 s[98:99], v197, v214                      // 00000000BF20: D0C90062 0003ADC5
	s_nop 0                                                    // 00000000BF28: BF800000
	v_cndmask_b32_e64 v54, v216, v54, s[98:99]                 // 00000000BF2C: D1000036 018A6DD8
	v_add_u32_e32 v197, 3, v196                                // 00000000BF34: 698B8883
	v_cmp_lt_u32_e64 s[98:99], v197, v214                      // 00000000BF38: D0C90062 0003ADC5
	s_nop 0                                                    // 00000000BF40: BF800000
	v_cndmask_b32_e64 v55, v216, v55, s[98:99]                 // 00000000BF44: D1000037 018A6FD8
	v_add_u32_e32 v197, 64, v196                               // 00000000BF4C: 698B88C0
	v_cmp_lt_u32_e64 s[98:99], v197, v214                      // 00000000BF50: D0C90062 0003ADC5
	s_nop 0                                                    // 00000000BF58: BF800000
	v_cndmask_b32_e64 v56, v216, v56, s[98:99]                 // 00000000BF5C: D1000038 018A71D8
	v_add_u32_e32 v197, 0x41, v196                             // 00000000BF64: 698B88FF 00000041
	v_cmp_lt_u32_e64 s[98:99], v197, v214                      // 00000000BF6C: D0C90062 0003ADC5
	s_nop 0                                                    // 00000000BF74: BF800000
	v_cndmask_b32_e64 v57, v216, v57, s[98:99]                 // 00000000BF78: D1000039 018A73D8
	v_add_u32_e32 v197, 0x42, v196                             // 00000000BF80: 698B88FF 00000042
	v_cmp_lt_u32_e64 s[98:99], v197, v214                      // 00000000BF88: D0C90062 0003ADC5
	s_nop 0                                                    // 00000000BF90: BF800000
	v_cndmask_b32_e64 v58, v216, v58, s[98:99]                 // 00000000BF94: D100003A 018A75D8
	v_add_u32_e32 v197, 0x43, v196                             // 00000000BF9C: 698B88FF 00000043
	v_cmp_lt_u32_e64 s[98:99], v197, v214                      // 00000000BFA4: D0C90062 0003ADC5
	s_nop 0                                                    // 00000000BFAC: BF800000
	v_cndmask_b32_e64 v59, v216, v59, s[98:99]                 // 00000000BFB0: D100003B 018A77D8
	v_add_u32_e32 v197, 0x80, v196                             // 00000000BFB8: 698B88FF 00000080
	v_cmp_lt_u32_e64 s[98:99], v197, v214                      // 00000000BFC0: D0C90062 0003ADC5
	s_nop 0                                                    // 00000000BFC8: BF800000
	v_cndmask_b32_e64 v60, v216, v60, s[98:99]                 // 00000000BFCC: D100003C 018A79D8
	v_add_u32_e32 v197, 0x81, v196                             // 00000000BFD4: 698B88FF 00000081
	v_cmp_lt_u32_e64 s[98:99], v197, v214                      // 00000000BFDC: D0C90062 0003ADC5
	s_nop 0                                                    // 00000000BFE4: BF800000
	v_cndmask_b32_e64 v61, v216, v61, s[98:99]                 // 00000000BFE8: D100003D 018A7BD8
	v_add_u32_e32 v197, 0x82, v196                             // 00000000BFF0: 698B88FF 00000082
	v_cmp_lt_u32_e64 s[98:99], v197, v214                      // 00000000BFF8: D0C90062 0003ADC5
	s_nop 0                                                    // 00000000C000: BF800000
	v_cndmask_b32_e64 v62, v216, v62, s[98:99]                 // 00000000C004: D100003E 018A7DD8
	v_add_u32_e32 v197, 0x83, v196                             // 00000000C00C: 698B88FF 00000083
	v_cmp_lt_u32_e64 s[98:99], v197, v214                      // 00000000C014: D0C90062 0003ADC5
	s_nop 0                                                    // 00000000C01C: BF800000
	v_cndmask_b32_e64 v63, v216, v63, s[98:99]                 // 00000000C020: D100003F 018A7FD8
	v_add_u32_e32 v197, 0xc0, v196                             // 00000000C028: 698B88FF 000000C0
	v_cmp_lt_u32_e64 s[98:99], v197, v214                      // 00000000C030: D0C90062 0003ADC5
	s_nop 0                                                    // 00000000C038: BF800000
	v_cndmask_b32_e64 v64, v216, v64, s[98:99]                 // 00000000C03C: D1000040 018A81D8
	v_add_u32_e32 v197, 0xc1, v196                             // 00000000C044: 698B88FF 000000C1
	v_cmp_lt_u32_e64 s[98:99], v197, v214                      // 00000000C04C: D0C90062 0003ADC5
	s_nop 0                                                    // 00000000C054: BF800000
	v_cndmask_b32_e64 v65, v216, v65, s[98:99]                 // 00000000C058: D1000041 018A83D8
	v_add_u32_e32 v197, 0xc2, v196                             // 00000000C060: 698B88FF 000000C2
	v_cmp_lt_u32_e64 s[98:99], v197, v214                      // 00000000C068: D0C90062 0003ADC5
	s_nop 0                                                    // 00000000C070: BF800000
	v_cndmask_b32_e64 v66, v216, v66, s[98:99]                 // 00000000C074: D1000042 018A85D8
	v_add_u32_e32 v197, 0xc3, v196                             // 00000000C07C: 698B88FF 000000C3
	v_cmp_lt_u32_e64 s[98:99], v197, v214                      // 00000000C084: D0C90062 0003ADC5
	s_nop 0                                                    // 00000000C08C: BF800000
	v_cndmask_b32_e64 v67, v216, v67, s[98:99]                 // 00000000C090: D1000043 018A87D8
	v_mov_b32_e32 v176, v4                                     // 00000000C098: 7F600304
	v_max3_f32 v176, v4, v5, v176                              // 00000000C09C: D1D300B0 06C20B04
	v_max3_f32 v176, v6, v7, v176                              // 00000000C0A4: D1D300B0 06C20F06
	v_max3_f32 v176, v8, v9, v176                              // 00000000C0AC: D1D300B0 06C21308
	v_max3_f32 v176, v10, v11, v176                            // 00000000C0B4: D1D300B0 06C2170A
	v_max3_f32 v176, v12, v13, v176                            // 00000000C0BC: D1D300B0 06C21B0C
	v_max3_f32 v176, v14, v15, v176                            // 00000000C0C4: D1D300B0 06C21F0E
	v_max3_f32 v176, v16, v17, v176                            // 00000000C0CC: D1D300B0 06C22310
	v_max3_f32 v176, v18, v19, v176                            // 00000000C0D4: D1D300B0 06C22712
	v_mov_b32_e32 v177, v20                                    // 00000000C0DC: 7F620314
	v_max3_f32 v177, v20, v21, v177                            // 00000000C0E0: D1D300B1 06C62B14
	v_max3_f32 v177, v22, v23, v177                            // 00000000C0E8: D1D300B1 06C62F16
	v_max3_f32 v177, v24, v25, v177                            // 00000000C0F0: D1D300B1 06C63318
	v_max3_f32 v177, v26, v27, v177                            // 00000000C0F8: D1D300B1 06C6371A
	v_max3_f32 v177, v28, v29, v177                            // 00000000C100: D1D300B1 06C63B1C
	v_max3_f32 v177, v30, v31, v177                            // 00000000C108: D1D300B1 06C63F1E
	v_max3_f32 v177, v32, v33, v177                            // 00000000C110: D1D300B1 06C64320
	v_max3_f32 v177, v34, v35, v177                            // 00000000C118: D1D300B1 06C64722
	v_mov_b32_e32 v178, v36                                    // 00000000C120: 7F640324
	v_max3_f32 v178, v36, v37, v178                            // 00000000C124: D1D300B2 06CA4B24
	v_max3_f32 v178, v38, v39, v178                            // 00000000C12C: D1D300B2 06CA4F26
	v_max3_f32 v178, v40, v41, v178                            // 00000000C134: D1D300B2 06CA5328
	v_max3_f32 v178, v42, v43, v178                            // 00000000C13C: D1D300B2 06CA572A
	v_max3_f32 v178, v44, v45, v178                            // 00000000C144: D1D300B2 06CA5B2C
	v_max3_f32 v178, v46, v47, v178                            // 00000000C14C: D1D300B2 06CA5F2E
	v_max3_f32 v178, v48, v49, v178                            // 00000000C154: D1D300B2 06CA6330
	v_max3_f32 v178, v50, v51, v178                            // 00000000C15C: D1D300B2 06CA6732
	v_mov_b32_e32 v179, v52                                    // 00000000C164: 7F660334
	v_max3_f32 v179, v52, v53, v179                            // 00000000C168: D1D300B3 06CE6B34
	v_max3_f32 v179, v54, v55, v179                            // 00000000C170: D1D300B3 06CE6F36
	v_max3_f32 v179, v56, v57, v179                            // 00000000C178: D1D300B3 06CE7338
	v_max3_f32 v179, v58, v59, v179                            // 00000000C180: D1D300B3 06CE773A
	v_max3_f32 v179, v60, v61, v179                            // 00000000C188: D1D300B3 06CE7B3C
	v_max3_f32 v179, v62, v63, v179                            // 00000000C190: D1D300B3 06CE7F3E
	v_max3_f32 v179, v64, v65, v179                            // 00000000C198: D1D300B3 06CE8340
	v_max3_f32 v179, v66, v67, v179                            // 00000000C1A0: D1D300B3 06CE8742
	ds_bpermute_b32 v180, v200, v176                           // 00000000C1A8: D87E0000 B400B0C8
	ds_bpermute_b32 v181, v201, v176                           // 00000000C1B0: D87E0000 B500B0C9
	ds_bpermute_b32 v182, v202, v176                           // 00000000C1B8: D87E0000 B600B0CA
	ds_bpermute_b32 v183, v200, v177                           // 00000000C1C0: D87E0000 B700B1C8
	ds_bpermute_b32 v184, v201, v177                           // 00000000C1C8: D87E0000 B800B1C9
	ds_bpermute_b32 v185, v202, v177                           // 00000000C1D0: D87E0000 B900B1CA
	ds_bpermute_b32 v186, v200, v178                           // 00000000C1D8: D87E0000 BA00B2C8
	ds_bpermute_b32 v187, v201, v178                           // 00000000C1E0: D87E0000 BB00B2C9
	ds_bpermute_b32 v188, v202, v178                           // 00000000C1E8: D87E0000 BC00B2CA
	ds_bpermute_b32 v189, v200, v179                           // 00000000C1F0: D87E0000 BD00B3C8
	ds_bpermute_b32 v190, v201, v179                           // 00000000C1F8: D87E0000 BE00B3C9
	ds_bpermute_b32 v191, v202, v179                           // 00000000C200: D87E0000 BF00B3CA
	v_pk_mul_f32 v[100:101], v[160:161], v[100:101]            // 00000000C208: D3B14064 1802C9A0
	v_pk_mul_f32 v[102:103], v[160:161], v[102:103]            // 00000000C210: D3B14066 1802CDA0
	v_pk_mul_f32 v[104:105], v[160:161], v[104:105]            // 00000000C218: D3B14068 1802D1A0
	v_pk_mul_f32 v[106:107], v[160:161], v[106:107]            // 00000000C220: D3B1406A 1802D5A0
	v_pk_mul_f32 v[108:109], v[162:163], v[108:109]            // 00000000C228: D3B1406C 1802D9A2
	v_pk_mul_f32 v[110:111], v[162:163], v[110:111]            // 00000000C230: D3B1406E 1802DDA2
	v_pk_mul_f32 v[112:113], v[162:163], v[112:113]            // 00000000C238: D3B14070 1802E1A2
	v_pk_mul_f32 v[114:115], v[162:163], v[114:115]            // 00000000C240: D3B14072 1802E5A2
	v_pk_mul_f32 v[116:117], v[164:165], v[116:117]            // 00000000C248: D3B14074 1802E9A4
	v_pk_mul_f32 v[118:119], v[164:165], v[118:119]            // 00000000C250: D3B14076 1802EDA4
	v_pk_mul_f32 v[120:121], v[164:165], v[120:121]            // 00000000C258: D3B14078 1802F1A4
	v_pk_mul_f32 v[122:123], v[164:165], v[122:123]            // 00000000C260: D3B1407A 1802F5A4
	v_pk_mul_f32 v[124:125], v[166:167], v[124:125]            // 00000000C268: D3B1407C 1802F9A6
	v_pk_mul_f32 v[126:127], v[166:167], v[126:127]            // 00000000C270: D3B1407E 1802FDA6
	v_pk_mul_f32 v[128:129], v[166:167], v[128:129]            // 00000000C278: D3B14080 180301A6
	v_pk_mul_f32 v[130:131], v[166:167], v[130:131]            // 00000000C280: D3B14082 180305A6
	s_waitcnt lgkmcnt(9)                                       // 00000000C288: BF8CC97F
	v_max3_f32 v176, v180, v181, v176                          // 00000000C28C: D1D300B0 06C36BB4
	v_max_f32_e32 v176, v182, v176                             // 00000000C294: 176161B6
	s_waitcnt lgkmcnt(6)                                       // 00000000C298: BF8CC67F
	v_max3_f32 v177, v183, v184, v177                          // 00000000C29C: D1D300B1 06C771B7
	v_max_f32_e32 v177, v185, v177                             // 00000000C2A4: 176363B9
	s_waitcnt lgkmcnt(3)                                       // 00000000C2A8: BF8CC37F
	v_max3_f32 v178, v186, v187, v178                          // 00000000C2AC: D1D300B2 06CB77BA
	v_max_f32_e32 v178, v188, v178                             // 00000000C2B4: 176565BC
	s_waitcnt lgkmcnt(0)                                       // 00000000C2B8: BF8CC07F
	v_max3_f32 v179, v189, v190, v179                          // 00000000C2BC: D1D300B3 06CF7DBD
	v_max_f32_e32 v179, v191, v179                             // 00000000C2C4: 176767BF
	ds_write_b128 v247, v[176:179]                             // 00000000C2C8: D9BE0000 0000B0F7
	s_waitcnt lgkmcnt(0)                                       // 00000000C2D0: BF8CC07F
	s_barrier                                                  // 00000000C2D4: BF8A0000
	ds_read_b128 v[180:183], v248                              // 00000000C2D8: D9FE0000 B40000F8
	ds_read_b128 v[184:187], v248 offset:256                   // 00000000C2E0: D9FE0100 B80000F8
	ds_read_b128 v[188:191], v248 offset:512                   // 00000000C2E8: D9FE0200 BC0000F8
	ds_read_b128 v[192:195], v248 offset:768                   // 00000000C2F0: D9FE0300 C00000F8
	v_pk_mul_f32 v[68:69], v[144:145], v[68:69]                // 00000000C2F8: D3B14044 18028990
	v_pk_mul_f32 v[70:71], v[144:145], v[70:71]                // 00000000C300: D3B14046 18028D90
	v_pk_mul_f32 v[72:73], v[144:145], v[72:73]                // 00000000C308: D3B14048 18029190
	v_pk_mul_f32 v[74:75], v[144:145], v[74:75]                // 00000000C310: D3B1404A 18029590
	v_pk_mul_f32 v[76:77], v[146:147], v[76:77]                // 00000000C318: D3B1404C 18029992
	v_pk_mul_f32 v[78:79], v[146:147], v[78:79]                // 00000000C320: D3B1404E 18029D92
	v_pk_mul_f32 v[80:81], v[146:147], v[80:81]                // 00000000C328: D3B14050 1802A192
	v_pk_mul_f32 v[82:83], v[146:147], v[82:83]                // 00000000C330: D3B14052 1802A592
	v_pk_mul_f32 v[84:85], v[148:149], v[84:85]                // 00000000C338: D3B14054 1802A994
	v_pk_mul_f32 v[86:87], v[148:149], v[86:87]                // 00000000C340: D3B14056 1802AD94
	v_pk_mul_f32 v[88:89], v[148:149], v[88:89]                // 00000000C348: D3B14058 1802B194
	v_pk_mul_f32 v[90:91], v[148:149], v[90:91]                // 00000000C350: D3B1405A 1802B594
	v_pk_mul_f32 v[92:93], v[150:151], v[92:93]                // 00000000C358: D3B1405C 1802B996
	v_pk_mul_f32 v[94:95], v[150:151], v[94:95]                // 00000000C360: D3B1405E 1802BD96
	v_pk_mul_f32 v[96:97], v[150:151], v[96:97]                // 00000000C368: D3B14060 1802C196
	v_pk_mul_f32 v[98:99], v[150:151], v[98:99]                // 00000000C370: D3B14062 1802C596
	s_waitcnt lgkmcnt(0)                                       // 00000000C378: BF8CC07F
	v_max3_f32 v176, v180, v184, v176                          // 00000000C37C: D1D300B0 06C371B4
	v_max3_f32 v177, v181, v185, v177                          // 00000000C384: D1D300B1 06C773B5
	v_max3_f32 v178, v182, v186, v178                          // 00000000C38C: D1D300B2 06CB75B6
	v_max3_f32 v179, v183, v187, v179                          // 00000000C394: D1D300B3 06CF77B7
	v_max3_f32 v176, v188, v192, v176                          // 00000000C39C: D1D300B0 06C381BC
	v_max3_f32 v177, v189, v193, v177                          // 00000000C3A4: D1D300B1 06C783BD
	v_max3_f32 v178, v190, v194, v178                          // 00000000C3AC: D1D300B2 06CB85BE
	v_max3_f32 v179, v191, v195, v179                          // 00000000C3B4: D1D300B3 06CF87BF
	v_max_f32_e32 v156, v176, v152                             // 00000000C3BC: 173931B0
	v_mul_f32_e64 v196, -s46, v156                             // 00000000C3C0: D10500C4 2003382E
	v_mov_b32_e32 v197, v196                                   // 00000000C3C8: 7F8A03C4
	v_pk_fma_f32 v[4:5], v[4:5], s[46:47], v[196:197]          // 00000000C3CC: D3B04004 1F105D04
	v_pk_fma_f32 v[6:7], v[6:7], s[46:47], v[196:197]          // 00000000C3D4: D3B04006 1F105D06
	v_exp_f32_e32 v4, v4                                       // 00000000C3DC: 7E084104
	v_exp_f32_e32 v5, v5                                       // 00000000C3E0: 7E0A4105
	v_exp_f32_e32 v6, v6                                       // 00000000C3E4: 7E0C4106
	v_exp_f32_e32 v7, v7                                       // 00000000C3E8: 7E0E4107
	v_pk_fma_f32 v[8:9], v[8:9], s[46:47], v[196:197]          // 00000000C3EC: D3B04008 1F105D08
	v_pk_fma_f32 v[10:11], v[10:11], s[46:47], v[196:197]      // 00000000C3F4: D3B0400A 1F105D0A
	v_exp_f32_e32 v8, v8                                       // 00000000C3FC: 7E104108
	v_exp_f32_e32 v9, v9                                       // 00000000C400: 7E124109
	v_exp_f32_e32 v10, v10                                     // 00000000C404: 7E14410A
	v_exp_f32_e32 v11, v11                                     // 00000000C408: 7E16410B
	v_pk_fma_f32 v[12:13], v[12:13], s[46:47], v[196:197]      // 00000000C40C: D3B0400C 1F105D0C
	v_pk_fma_f32 v[14:15], v[14:15], s[46:47], v[196:197]      // 00000000C414: D3B0400E 1F105D0E
	v_exp_f32_e32 v12, v12                                     // 00000000C41C: 7E18410C
	v_exp_f32_e32 v13, v13                                     // 00000000C420: 7E1A410D
	v_exp_f32_e32 v14, v14                                     // 00000000C424: 7E1C410E
	v_exp_f32_e32 v15, v15                                     // 00000000C428: 7E1E410F
	v_pk_fma_f32 v[16:17], v[16:17], s[46:47], v[196:197]      // 00000000C42C: D3B04010 1F105D10
	v_pk_fma_f32 v[18:19], v[18:19], s[46:47], v[196:197]      // 00000000C434: D3B04012 1F105D12
	v_exp_f32_e32 v16, v16                                     // 00000000C43C: 7E204110
	v_exp_f32_e32 v17, v17                                     // 00000000C440: 7E224111
	v_exp_f32_e32 v18, v18                                     // 00000000C444: 7E244112
	v_exp_f32_e32 v19, v19                                     // 00000000C448: 7E264113
	v_max_f32_e32 v157, v177, v153                             // 00000000C44C: 173B33B1
	v_mul_f32_e64 v196, -s46, v157                             // 00000000C450: D10500C4 20033A2E
	v_mov_b32_e32 v197, v196                                   // 00000000C458: 7F8A03C4
	v_pk_fma_f32 v[20:21], v[20:21], s[46:47], v[196:197]      // 00000000C45C: D3B04014 1F105D14
	v_pk_fma_f32 v[22:23], v[22:23], s[46:47], v[196:197]      // 00000000C464: D3B04016 1F105D16
	v_exp_f32_e32 v20, v20                                     // 00000000C46C: 7E284114
	v_exp_f32_e32 v21, v21                                     // 00000000C470: 7E2A4115
	v_exp_f32_e32 v22, v22                                     // 00000000C474: 7E2C4116
	v_exp_f32_e32 v23, v23                                     // 00000000C478: 7E2E4117
	v_pk_fma_f32 v[24:25], v[24:25], s[46:47], v[196:197]      // 00000000C47C: D3B04018 1F105D18
	v_pk_fma_f32 v[26:27], v[26:27], s[46:47], v[196:197]      // 00000000C484: D3B0401A 1F105D1A
	v_exp_f32_e32 v24, v24                                     // 00000000C48C: 7E304118
	v_exp_f32_e32 v25, v25                                     // 00000000C490: 7E324119
	v_exp_f32_e32 v26, v26                                     // 00000000C494: 7E34411A
	v_exp_f32_e32 v27, v27                                     // 00000000C498: 7E36411B
	v_pk_fma_f32 v[28:29], v[28:29], s[46:47], v[196:197]      // 00000000C49C: D3B0401C 1F105D1C
	v_pk_fma_f32 v[30:31], v[30:31], s[46:47], v[196:197]      // 00000000C4A4: D3B0401E 1F105D1E
	v_exp_f32_e32 v28, v28                                     // 00000000C4AC: 7E38411C
	v_exp_f32_e32 v29, v29                                     // 00000000C4B0: 7E3A411D
	v_exp_f32_e32 v30, v30                                     // 00000000C4B4: 7E3C411E
	v_exp_f32_e32 v31, v31                                     // 00000000C4B8: 7E3E411F
	v_pk_fma_f32 v[32:33], v[32:33], s[46:47], v[196:197]      // 00000000C4BC: D3B04020 1F105D20
	v_pk_fma_f32 v[34:35], v[34:35], s[46:47], v[196:197]      // 00000000C4C4: D3B04022 1F105D22
	v_exp_f32_e32 v32, v32                                     // 00000000C4CC: 7E404120
	v_exp_f32_e32 v33, v33                                     // 00000000C4D0: 7E424121
	v_exp_f32_e32 v34, v34                                     // 00000000C4D4: 7E444122
	v_exp_f32_e32 v35, v35                                     // 00000000C4D8: 7E464123
	v_max_f32_e32 v158, v178, v154                             // 00000000C4DC: 173D35B2
	v_mul_f32_e64 v196, -s46, v158                             // 00000000C4E0: D10500C4 20033C2E
	v_mov_b32_e32 v197, v196                                   // 00000000C4E8: 7F8A03C4
	v_pk_fma_f32 v[36:37], v[36:37], s[46:47], v[196:197]      // 00000000C4EC: D3B04024 1F105D24
	v_pk_fma_f32 v[38:39], v[38:39], s[46:47], v[196:197]      // 00000000C4F4: D3B04026 1F105D26
	v_exp_f32_e32 v36, v36                                     // 00000000C4FC: 7E484124
	v_exp_f32_e32 v37, v37                                     // 00000000C500: 7E4A4125
	v_exp_f32_e32 v38, v38                                     // 00000000C504: 7E4C4126
	v_exp_f32_e32 v39, v39                                     // 00000000C508: 7E4E4127
	v_pk_fma_f32 v[40:41], v[40:41], s[46:47], v[196:197]      // 00000000C50C: D3B04028 1F105D28
	v_pk_fma_f32 v[42:43], v[42:43], s[46:47], v[196:197]      // 00000000C514: D3B0402A 1F105D2A
	v_exp_f32_e32 v40, v40                                     // 00000000C51C: 7E504128
	v_exp_f32_e32 v41, v41                                     // 00000000C520: 7E524129
	v_exp_f32_e32 v42, v42                                     // 00000000C524: 7E54412A
	v_exp_f32_e32 v43, v43                                     // 00000000C528: 7E56412B
	v_pk_fma_f32 v[44:45], v[44:45], s[46:47], v[196:197]      // 00000000C52C: D3B0402C 1F105D2C
	v_pk_fma_f32 v[46:47], v[46:47], s[46:47], v[196:197]      // 00000000C534: D3B0402E 1F105D2E
	v_exp_f32_e32 v44, v44                                     // 00000000C53C: 7E58412C
	v_exp_f32_e32 v45, v45                                     // 00000000C540: 7E5A412D
	v_exp_f32_e32 v46, v46                                     // 00000000C544: 7E5C412E
	v_exp_f32_e32 v47, v47                                     // 00000000C548: 7E5E412F
	v_pk_fma_f32 v[48:49], v[48:49], s[46:47], v[196:197]      // 00000000C54C: D3B04030 1F105D30
	v_pk_fma_f32 v[50:51], v[50:51], s[46:47], v[196:197]      // 00000000C554: D3B04032 1F105D32
	v_exp_f32_e32 v48, v48                                     // 00000000C55C: 7E604130
	v_exp_f32_e32 v49, v49                                     // 00000000C560: 7E624131
	v_exp_f32_e32 v50, v50                                     // 00000000C564: 7E644132
	v_exp_f32_e32 v51, v51                                     // 00000000C568: 7E664133
	v_max_f32_e32 v159, v179, v155                             // 00000000C56C: 173F37B3
	v_mul_f32_e64 v196, -s46, v159                             // 00000000C570: D10500C4 20033E2E
	v_mov_b32_e32 v197, v196                                   // 00000000C578: 7F8A03C4
	v_pk_fma_f32 v[52:53], v[52:53], s[46:47], v[196:197]      // 00000000C57C: D3B04034 1F105D34
	v_pk_fma_f32 v[54:55], v[54:55], s[46:47], v[196:197]      // 00000000C584: D3B04036 1F105D36
	v_exp_f32_e32 v52, v52                                     // 00000000C58C: 7E684134
	v_exp_f32_e32 v53, v53                                     // 00000000C590: 7E6A4135
	v_exp_f32_e32 v54, v54                                     // 00000000C594: 7E6C4136
	v_exp_f32_e32 v55, v55                                     // 00000000C598: 7E6E4137
	v_pk_fma_f32 v[56:57], v[56:57], s[46:47], v[196:197]      // 00000000C59C: D3B04038 1F105D38
	v_pk_fma_f32 v[58:59], v[58:59], s[46:47], v[196:197]      // 00000000C5A4: D3B0403A 1F105D3A
	v_exp_f32_e32 v56, v56                                     // 00000000C5AC: 7E704138
	v_exp_f32_e32 v57, v57                                     // 00000000C5B0: 7E724139
	v_exp_f32_e32 v58, v58                                     // 00000000C5B4: 7E74413A
	v_exp_f32_e32 v59, v59                                     // 00000000C5B8: 7E76413B
	v_pk_fma_f32 v[60:61], v[60:61], s[46:47], v[196:197]      // 00000000C5BC: D3B0403C 1F105D3C
	v_pk_fma_f32 v[62:63], v[62:63], s[46:47], v[196:197]      // 00000000C5C4: D3B0403E 1F105D3E
	v_exp_f32_e32 v60, v60                                     // 00000000C5CC: 7E78413C
	v_exp_f32_e32 v61, v61                                     // 00000000C5D0: 7E7A413D
	v_exp_f32_e32 v62, v62                                     // 00000000C5D4: 7E7C413E
	v_exp_f32_e32 v63, v63                                     // 00000000C5D8: 7E7E413F
	v_pk_fma_f32 v[64:65], v[64:65], s[46:47], v[196:197]      // 00000000C5DC: D3B04040 1F105D40
	v_pk_fma_f32 v[66:67], v[66:67], s[46:47], v[196:197]      // 00000000C5E4: D3B04042 1F105D42
	v_exp_f32_e32 v64, v64                                     // 00000000C5EC: 7E804140
	v_exp_f32_e32 v65, v65                                     // 00000000C5F0: 7E824141
	v_exp_f32_e32 v66, v66                                     // 00000000C5F4: 7E844142
	v_exp_f32_e32 v67, v67                                     // 00000000C5F8: 7E864143
	v_sub_f32_e32 v160, v152, v156                             // 00000000C5FC: 05413998
	v_cmp_eq_u32_e64 s[98:99], v216, v152                      // 00000000C600: D0CA0062 000331D8
	v_cndmask_b32_e64 v160, v160, 0, s[98:99]                  // 00000000C608: D10000A0 018901A0
	v_mov_b32_e32 v152, v156                                   // 00000000C610: 7F30039C
	v_mul_f32_e32 v160, s46, v160                              // 00000000C614: 0B41402E
	v_exp_f32_e32 v160, v160                                   // 00000000C618: 7F4041A0
	v_sub_f32_e32 v162, v153, v157                             // 00000000C61C: 05453B99
	v_cmp_eq_u32_e64 s[98:99], v216, v153                      // 00000000C620: D0CA0062 000333D8
	v_cndmask_b32_e64 v162, v162, 0, s[98:99]                  // 00000000C628: D10000A2 018901A2
	v_mov_b32_e32 v153, v157                                   // 00000000C630: 7F32039D
	v_mul_f32_e32 v162, s46, v162                              // 00000000C634: 0B45442E
	v_exp_f32_e32 v162, v162                                   // 00000000C638: 7F4441A2
	v_sub_f32_e32 v164, v154, v158                             // 00000000C63C: 05493D9A
	v_cmp_eq_u32_e64 s[98:99], v216, v154                      // 00000000C640: D0CA0062 000335D8
	v_cndmask_b32_e64 v164, v164, 0, s[98:99]                  // 00000000C648: D10000A4 018901A4
	v_mov_b32_e32 v154, v158                                   // 00000000C650: 7F34039E
	v_mul_f32_e32 v164, s46, v164                              // 00000000C654: 0B49482E
	v_exp_f32_e32 v164, v164                                   // 00000000C658: 7F4841A4
	v_sub_f32_e32 v166, v155, v159                             // 00000000C65C: 054D3F9B
	v_cmp_eq_u32_e64 s[98:99], v216, v155                      // 00000000C660: D0CA0062 000337D8
	v_cndmask_b32_e64 v166, v166, 0, s[98:99]                  // 00000000C668: D10000A6 018901A6
	v_mov_b32_e32 v155, v159                                   // 00000000C670: 7F36039F
	v_mul_f32_e32 v166, s46, v166                              // 00000000C674: 0B4D4C2E
	v_exp_f32_e32 v166, v166                                   // 00000000C678: 7F4C41A6
	v_mov_b32_e32 v161, v160                                   // 00000000C67C: 7F4203A0
	v_mov_b32_e32 v163, v162                                   // 00000000C680: 7F4603A2
	v_mov_b32_e32 v165, v164                                   // 00000000C684: 7F4A03A4
	v_mov_b32_e32 v167, v166                                   // 00000000C688: 7F4E03A6
	v_mul_f32_e32 v168, v160, v168                             // 00000000C68C: 0B5151A0
	v_mov_b32_e32 v169, 0                                      // 00000000C690: 7F520280
	v_pk_add_f32 v[168:169], v[4:5], v[168:169]                // 00000000C694: D3B240A8 18035104
	v_pk_add_f32 v[168:169], v[6:7], v[168:169]                // 00000000C69C: D3B240A8 18035106
	v_pk_add_f32 v[168:169], v[8:9], v[168:169]                // 00000000C6A4: D3B240A8 18035108
	v_pk_add_f32 v[168:169], v[10:11], v[168:169]              // 00000000C6AC: D3B240A8 1803510A
	v_pk_add_f32 v[168:169], v[12:13], v[168:169]              // 00000000C6B4: D3B240A8 1803510C
	v_pk_add_f32 v[168:169], v[14:15], v[168:169]              // 00000000C6BC: D3B240A8 1803510E
	v_pk_add_f32 v[168:169], v[16:17], v[168:169]              // 00000000C6C4: D3B240A8 18035110
	v_pk_add_f32 v[168:169], v[18:19], v[168:169]              // 00000000C6CC: D3B240A8 18035112
	v_add_f32_e32 v168, v169, v168                             // 00000000C6D4: 035151A9
	v_mul_f32_e32 v170, v162, v170                             // 00000000C6D8: 0B5555A2
	v_mov_b32_e32 v171, 0                                      // 00000000C6DC: 7F560280
	v_pk_add_f32 v[170:171], v[20:21], v[170:171]              // 00000000C6E0: D3B240AA 18035514
	v_pk_add_f32 v[170:171], v[22:23], v[170:171]              // 00000000C6E8: D3B240AA 18035516
	v_pk_add_f32 v[170:171], v[24:25], v[170:171]              // 00000000C6F0: D3B240AA 18035518
	v_pk_add_f32 v[170:171], v[26:27], v[170:171]              // 00000000C6F8: D3B240AA 1803551A
	v_pk_add_f32 v[170:171], v[28:29], v[170:171]              // 00000000C700: D3B240AA 1803551C
	v_pk_add_f32 v[170:171], v[30:31], v[170:171]              // 00000000C708: D3B240AA 1803551E
	v_pk_add_f32 v[170:171], v[32:33], v[170:171]              // 00000000C710: D3B240AA 18035520
	v_pk_add_f32 v[170:171], v[34:35], v[170:171]              // 00000000C718: D3B240AA 18035522
	v_add_f32_e32 v170, v171, v170                             // 00000000C720: 035555AB
	v_mul_f32_e32 v172, v164, v172                             // 00000000C724: 0B5959A4
	v_mov_b32_e32 v173, 0                                      // 00000000C728: 7F5A0280
	v_pk_add_f32 v[172:173], v[36:37], v[172:173]              // 00000000C72C: D3B240AC 18035924
	v_pk_add_f32 v[172:173], v[38:39], v[172:173]              // 00000000C734: D3B240AC 18035926
	v_pk_add_f32 v[172:173], v[40:41], v[172:173]              // 00000000C73C: D3B240AC 18035928
	v_pk_add_f32 v[172:173], v[42:43], v[172:173]              // 00000000C744: D3B240AC 1803592A
	v_pk_add_f32 v[172:173], v[44:45], v[172:173]              // 00000000C74C: D3B240AC 1803592C
	v_pk_add_f32 v[172:173], v[46:47], v[172:173]              // 00000000C754: D3B240AC 1803592E
	v_pk_add_f32 v[172:173], v[48:49], v[172:173]              // 00000000C75C: D3B240AC 18035930
	v_pk_add_f32 v[172:173], v[50:51], v[172:173]              // 00000000C764: D3B240AC 18035932
	v_add_f32_e32 v172, v173, v172                             // 00000000C76C: 035959AD
	v_mul_f32_e32 v174, v166, v174                             // 00000000C770: 0B5D5DA6
	v_mov_b32_e32 v175, 0                                      // 00000000C774: 7F5E0280
	v_pk_add_f32 v[174:175], v[52:53], v[174:175]              // 00000000C778: D3B240AE 18035D34
	v_pk_add_f32 v[174:175], v[54:55], v[174:175]              // 00000000C780: D3B240AE 18035D36
	v_pk_add_f32 v[174:175], v[56:57], v[174:175]              // 00000000C788: D3B240AE 18035D38
	v_pk_add_f32 v[174:175], v[58:59], v[174:175]              // 00000000C790: D3B240AE 18035D3A
	v_pk_add_f32 v[174:175], v[60:61], v[174:175]              // 00000000C798: D3B240AE 18035D3C
	v_pk_add_f32 v[174:175], v[62:63], v[174:175]              // 00000000C7A0: D3B240AE 18035D3E
	v_pk_add_f32 v[174:175], v[64:65], v[174:175]              // 00000000C7A8: D3B240AE 18035D40
	v_pk_add_f32 v[174:175], v[66:67], v[174:175]              // 00000000C7B0: D3B240AE 18035D42
	v_add_f32_e32 v174, v175, v174                             // 00000000C7B8: 035D5DAF
	v_mul_f32_dpp v4, v143, v4 row_newbcast:0 row_mask:0xf bank_mask:0xf// 00000000C7BC: 0A0808FA FF01508F
	v_mul_f32_dpp v5, v143, v5 row_newbcast:1 row_mask:0xf bank_mask:0xf// 00000000C7C4: 0A0A0AFA FF01518F
	v_mul_f32_dpp v6, v143, v6 row_newbcast:2 row_mask:0xf bank_mask:0xf// 00000000C7CC: 0A0C0CFA FF01528F
	v_mul_f32_dpp v7, v143, v7 row_newbcast:3 row_mask:0xf bank_mask:0xf// 00000000C7D4: 0A0E0EFA FF01538F
	v_mul_f32_dpp v8, v143, v8 row_newbcast:4 row_mask:0xf bank_mask:0xf// 00000000C7DC: 0A1010FA FF01548F
	v_mul_f32_dpp v9, v143, v9 row_newbcast:5 row_mask:0xf bank_mask:0xf// 00000000C7E4: 0A1212FA FF01558F
	v_mul_f32_dpp v10, v143, v10 row_newbcast:6 row_mask:0xf bank_mask:0xf// 00000000C7EC: 0A1414FA FF01568F
	v_mul_f32_dpp v11, v143, v11 row_newbcast:7 row_mask:0xf bank_mask:0xf// 00000000C7F4: 0A1616FA FF01578F
	v_mul_f32_dpp v12, v143, v12 row_newbcast:8 row_mask:0xf bank_mask:0xf// 00000000C7FC: 0A1818FA FF01588F
	v_mul_f32_dpp v13, v143, v13 row_newbcast:9 row_mask:0xf bank_mask:0xf// 00000000C804: 0A1A1AFA FF01598F
	v_mul_f32_dpp v14, v143, v14 row_newbcast:10 row_mask:0xf bank_mask:0xf// 00000000C80C: 0A1C1CFA FF015A8F
	v_mul_f32_dpp v15, v143, v15 row_newbcast:11 row_mask:0xf bank_mask:0xf// 00000000C814: 0A1E1EFA FF015B8F
	v_mul_f32_dpp v16, v143, v16 row_newbcast:12 row_mask:0xf bank_mask:0xf// 00000000C81C: 0A2020FA FF015C8F
	v_mul_f32_dpp v17, v143, v17 row_newbcast:13 row_mask:0xf bank_mask:0xf// 00000000C824: 0A2222FA FF015D8F
	v_mul_f32_dpp v18, v143, v18 row_newbcast:14 row_mask:0xf bank_mask:0xf// 00000000C82C: 0A2424FA FF015E8F
	v_mul_f32_dpp v19, v143, v19 row_newbcast:15 row_mask:0xf bank_mask:0xf// 00000000C834: 0A2626FA FF015F8F
	v_mul_f32_dpp v20, v143, v20 row_newbcast:0 row_mask:0xf bank_mask:0xf// 00000000C83C: 0A2828FA FF01508F
	v_mul_f32_dpp v21, v143, v21 row_newbcast:1 row_mask:0xf bank_mask:0xf// 00000000C844: 0A2A2AFA FF01518F
	v_mul_f32_dpp v22, v143, v22 row_newbcast:2 row_mask:0xf bank_mask:0xf// 00000000C84C: 0A2C2CFA FF01528F
	v_mul_f32_dpp v23, v143, v23 row_newbcast:3 row_mask:0xf bank_mask:0xf// 00000000C854: 0A2E2EFA FF01538F
	v_mul_f32_dpp v24, v143, v24 row_newbcast:4 row_mask:0xf bank_mask:0xf// 00000000C85C: 0A3030FA FF01548F
	v_mul_f32_dpp v25, v143, v25 row_newbcast:5 row_mask:0xf bank_mask:0xf// 00000000C864: 0A3232FA FF01558F
	v_mul_f32_dpp v26, v143, v26 row_newbcast:6 row_mask:0xf bank_mask:0xf// 00000000C86C: 0A3434FA FF01568F
	v_mul_f32_dpp v27, v143, v27 row_newbcast:7 row_mask:0xf bank_mask:0xf// 00000000C874: 0A3636FA FF01578F
	v_mul_f32_dpp v28, v143, v28 row_newbcast:8 row_mask:0xf bank_mask:0xf// 00000000C87C: 0A3838FA FF01588F
	v_mul_f32_dpp v29, v143, v29 row_newbcast:9 row_mask:0xf bank_mask:0xf// 00000000C884: 0A3A3AFA FF01598F
	v_mul_f32_dpp v30, v143, v30 row_newbcast:10 row_mask:0xf bank_mask:0xf// 00000000C88C: 0A3C3CFA FF015A8F
	v_mul_f32_dpp v31, v143, v31 row_newbcast:11 row_mask:0xf bank_mask:0xf// 00000000C894: 0A3E3EFA FF015B8F
	v_mul_f32_dpp v32, v143, v32 row_newbcast:12 row_mask:0xf bank_mask:0xf// 00000000C89C: 0A4040FA FF015C8F
	v_mul_f32_dpp v33, v143, v33 row_newbcast:13 row_mask:0xf bank_mask:0xf// 00000000C8A4: 0A4242FA FF015D8F
	v_mul_f32_dpp v34, v143, v34 row_newbcast:14 row_mask:0xf bank_mask:0xf// 00000000C8AC: 0A4444FA FF015E8F
	v_mul_f32_dpp v35, v143, v35 row_newbcast:15 row_mask:0xf bank_mask:0xf// 00000000C8B4: 0A4646FA FF015F8F
	v_mul_f32_dpp v36, v143, v36 row_newbcast:0 row_mask:0xf bank_mask:0xf// 00000000C8BC: 0A4848FA FF01508F
	v_mul_f32_dpp v37, v143, v37 row_newbcast:1 row_mask:0xf bank_mask:0xf// 00000000C8C4: 0A4A4AFA FF01518F
	v_mul_f32_dpp v38, v143, v38 row_newbcast:2 row_mask:0xf bank_mask:0xf// 00000000C8CC: 0A4C4CFA FF01528F
	v_mul_f32_dpp v39, v143, v39 row_newbcast:3 row_mask:0xf bank_mask:0xf// 00000000C8D4: 0A4E4EFA FF01538F
	v_mul_f32_dpp v40, v143, v40 row_newbcast:4 row_mask:0xf bank_mask:0xf// 00000000C8DC: 0A5050FA FF01548F
	v_mul_f32_dpp v41, v143, v41 row_newbcast:5 row_mask:0xf bank_mask:0xf// 00000000C8E4: 0A5252FA FF01558F
	v_mul_f32_dpp v42, v143, v42 row_newbcast:6 row_mask:0xf bank_mask:0xf// 00000000C8EC: 0A5454FA FF01568F
	v_mul_f32_dpp v43, v143, v43 row_newbcast:7 row_mask:0xf bank_mask:0xf// 00000000C8F4: 0A5656FA FF01578F
	v_mul_f32_dpp v44, v143, v44 row_newbcast:8 row_mask:0xf bank_mask:0xf// 00000000C8FC: 0A5858FA FF01588F
	v_mul_f32_dpp v45, v143, v45 row_newbcast:9 row_mask:0xf bank_mask:0xf// 00000000C904: 0A5A5AFA FF01598F
	v_mul_f32_dpp v46, v143, v46 row_newbcast:10 row_mask:0xf bank_mask:0xf// 00000000C90C: 0A5C5CFA FF015A8F
	v_mul_f32_dpp v47, v143, v47 row_newbcast:11 row_mask:0xf bank_mask:0xf// 00000000C914: 0A5E5EFA FF015B8F
	v_mul_f32_dpp v48, v143, v48 row_newbcast:12 row_mask:0xf bank_mask:0xf// 00000000C91C: 0A6060FA FF015C8F
	v_mul_f32_dpp v49, v143, v49 row_newbcast:13 row_mask:0xf bank_mask:0xf// 00000000C924: 0A6262FA FF015D8F
	v_mul_f32_dpp v50, v143, v50 row_newbcast:14 row_mask:0xf bank_mask:0xf// 00000000C92C: 0A6464FA FF015E8F
	v_mul_f32_dpp v51, v143, v51 row_newbcast:15 row_mask:0xf bank_mask:0xf// 00000000C934: 0A6666FA FF015F8F
	v_mul_f32_dpp v52, v143, v52 row_newbcast:0 row_mask:0xf bank_mask:0xf// 00000000C93C: 0A6868FA FF01508F
	v_mul_f32_dpp v53, v143, v53 row_newbcast:1 row_mask:0xf bank_mask:0xf// 00000000C944: 0A6A6AFA FF01518F
	v_mul_f32_dpp v54, v143, v54 row_newbcast:2 row_mask:0xf bank_mask:0xf// 00000000C94C: 0A6C6CFA FF01528F
	v_mul_f32_dpp v55, v143, v55 row_newbcast:3 row_mask:0xf bank_mask:0xf// 00000000C954: 0A6E6EFA FF01538F
	v_mul_f32_dpp v56, v143, v56 row_newbcast:4 row_mask:0xf bank_mask:0xf// 00000000C95C: 0A7070FA FF01548F
	v_mul_f32_dpp v57, v143, v57 row_newbcast:5 row_mask:0xf bank_mask:0xf// 00000000C964: 0A7272FA FF01558F
	v_mul_f32_dpp v58, v143, v58 row_newbcast:6 row_mask:0xf bank_mask:0xf// 00000000C96C: 0A7474FA FF01568F
	v_mul_f32_dpp v59, v143, v59 row_newbcast:7 row_mask:0xf bank_mask:0xf// 00000000C974: 0A7676FA FF01578F
	v_mul_f32_dpp v60, v143, v60 row_newbcast:8 row_mask:0xf bank_mask:0xf// 00000000C97C: 0A7878FA FF01588F
	v_mul_f32_dpp v61, v143, v61 row_newbcast:9 row_mask:0xf bank_mask:0xf// 00000000C984: 0A7A7AFA FF01598F
	v_mul_f32_dpp v62, v143, v62 row_newbcast:10 row_mask:0xf bank_mask:0xf// 00000000C98C: 0A7C7CFA FF015A8F
	v_mul_f32_dpp v63, v143, v63 row_newbcast:11 row_mask:0xf bank_mask:0xf// 00000000C994: 0A7E7EFA FF015B8F
	v_mul_f32_dpp v64, v143, v64 row_newbcast:12 row_mask:0xf bank_mask:0xf// 00000000C99C: 0A8080FA FF015C8F
	v_mul_f32_dpp v65, v143, v65 row_newbcast:13 row_mask:0xf bank_mask:0xf// 00000000C9A4: 0A8282FA FF015D8F
	v_mul_f32_dpp v66, v143, v66 row_newbcast:14 row_mask:0xf bank_mask:0xf// 00000000C9AC: 0A8484FA FF015E8F
	v_mul_f32_dpp v67, v143, v67 row_newbcast:15 row_mask:0xf bank_mask:0xf// 00000000C9B4: 0A8686FA FF015F8F
	v_add_u32_e32 v196, s64, v215                              // 00000000C9BC: 6989AE40
	v_add_u32_e32 v197, 0, v196                                // 00000000C9C0: 698B8880
	v_cmp_lt_u32_e32 vcc, v197, v211                           // 00000000C9C4: 7D93A7C5
	v_cndmask_b32_e32 v4, 0, v4, vcc                           // 00000000C9C8: 00080880
	v_cmp_lt_u32_e32 vcc, v197, v212                           // 00000000C9CC: 7D93A9C5
	v_cndmask_b32_e32 v20, 0, v20, vcc                         // 00000000C9D0: 00282880
	v_cmp_lt_u32_e32 vcc, v197, v213                           // 00000000C9D4: 7D93ABC5
	v_cndmask_b32_e32 v36, 0, v36, vcc                         // 00000000C9D8: 00484880
	v_cmp_lt_u32_e32 vcc, v197, v214                           // 00000000C9DC: 7D93ADC5
	v_cndmask_b32_e32 v52, 0, v52, vcc                         // 00000000C9E0: 00686880
	v_add_u32_e32 v197, 1, v196                                // 00000000C9E4: 698B8881
	v_cmp_lt_u32_e32 vcc, v197, v211                           // 00000000C9E8: 7D93A7C5
	v_cndmask_b32_e32 v5, 0, v5, vcc                           // 00000000C9EC: 000A0A80
	v_cmp_lt_u32_e32 vcc, v197, v212                           // 00000000C9F0: 7D93A9C5
	v_cndmask_b32_e32 v21, 0, v21, vcc                         // 00000000C9F4: 002A2A80
	v_cmp_lt_u32_e32 vcc, v197, v213                           // 00000000C9F8: 7D93ABC5
	v_cndmask_b32_e32 v37, 0, v37, vcc                         // 00000000C9FC: 004A4A80
	v_cmp_lt_u32_e32 vcc, v197, v214                           // 00000000CA00: 7D93ADC5
	v_cndmask_b32_e32 v53, 0, v53, vcc                         // 00000000CA04: 006A6A80
	v_add_u32_e32 v197, 2, v196                                // 00000000CA08: 698B8882
	v_cmp_lt_u32_e32 vcc, v197, v211                           // 00000000CA0C: 7D93A7C5
	v_cndmask_b32_e32 v6, 0, v6, vcc                           // 00000000CA10: 000C0C80
	v_cmp_lt_u32_e32 vcc, v197, v212                           // 00000000CA14: 7D93A9C5
	v_cndmask_b32_e32 v22, 0, v22, vcc                         // 00000000CA18: 002C2C80
	v_cmp_lt_u32_e32 vcc, v197, v213                           // 00000000CA1C: 7D93ABC5
	v_cndmask_b32_e32 v38, 0, v38, vcc                         // 00000000CA20: 004C4C80
	v_cmp_lt_u32_e32 vcc, v197, v214                           // 00000000CA24: 7D93ADC5
	v_cndmask_b32_e32 v54, 0, v54, vcc                         // 00000000CA28: 006C6C80
	v_add_u32_e32 v197, 3, v196                                // 00000000CA2C: 698B8883
	v_cmp_lt_u32_e32 vcc, v197, v211                           // 00000000CA30: 7D93A7C5
	v_cndmask_b32_e32 v7, 0, v7, vcc                           // 00000000CA34: 000E0E80
	v_cmp_lt_u32_e32 vcc, v197, v212                           // 00000000CA38: 7D93A9C5
	v_cndmask_b32_e32 v23, 0, v23, vcc                         // 00000000CA3C: 002E2E80
	v_cmp_lt_u32_e32 vcc, v197, v213                           // 00000000CA40: 7D93ABC5
	v_cndmask_b32_e32 v39, 0, v39, vcc                         // 00000000CA44: 004E4E80
	v_cmp_lt_u32_e32 vcc, v197, v214                           // 00000000CA48: 7D93ADC5
	v_cndmask_b32_e32 v55, 0, v55, vcc                         // 00000000CA4C: 006E6E80
	v_add_u32_e32 v197, 64, v196                               // 00000000CA50: 698B88C0
	v_cmp_lt_u32_e32 vcc, v197, v211                           // 00000000CA54: 7D93A7C5
	v_cndmask_b32_e32 v8, 0, v8, vcc                           // 00000000CA58: 00101080
	v_cmp_lt_u32_e32 vcc, v197, v212                           // 00000000CA5C: 7D93A9C5
	v_cndmask_b32_e32 v24, 0, v24, vcc                         // 00000000CA60: 00303080
	v_cmp_lt_u32_e32 vcc, v197, v213                           // 00000000CA64: 7D93ABC5
	v_cndmask_b32_e32 v40, 0, v40, vcc                         // 00000000CA68: 00505080
	v_cmp_lt_u32_e32 vcc, v197, v214                           // 00000000CA6C: 7D93ADC5
	v_cndmask_b32_e32 v56, 0, v56, vcc                         // 00000000CA70: 00707080
	v_add_u32_e32 v197, 0x41, v196                             // 00000000CA74: 698B88FF 00000041
	v_cmp_lt_u32_e32 vcc, v197, v211                           // 00000000CA7C: 7D93A7C5
	v_cndmask_b32_e32 v9, 0, v9, vcc                           // 00000000CA80: 00121280
	v_cmp_lt_u32_e32 vcc, v197, v212                           // 00000000CA84: 7D93A9C5
	v_cndmask_b32_e32 v25, 0, v25, vcc                         // 00000000CA88: 00323280
	v_cmp_lt_u32_e32 vcc, v197, v213                           // 00000000CA8C: 7D93ABC5
	v_cndmask_b32_e32 v41, 0, v41, vcc                         // 00000000CA90: 00525280
	v_cmp_lt_u32_e32 vcc, v197, v214                           // 00000000CA94: 7D93ADC5
	v_cndmask_b32_e32 v57, 0, v57, vcc                         // 00000000CA98: 00727280
	v_add_u32_e32 v197, 0x42, v196                             // 00000000CA9C: 698B88FF 00000042
	v_cmp_lt_u32_e32 vcc, v197, v211                           // 00000000CAA4: 7D93A7C5
	v_cndmask_b32_e32 v10, 0, v10, vcc                         // 00000000CAA8: 00141480
	v_cmp_lt_u32_e32 vcc, v197, v212                           // 00000000CAAC: 7D93A9C5
	v_cndmask_b32_e32 v26, 0, v26, vcc                         // 00000000CAB0: 00343480
	v_cmp_lt_u32_e32 vcc, v197, v213                           // 00000000CAB4: 7D93ABC5
	v_cndmask_b32_e32 v42, 0, v42, vcc                         // 00000000CAB8: 00545480
	v_cmp_lt_u32_e32 vcc, v197, v214                           // 00000000CABC: 7D93ADC5
	v_cndmask_b32_e32 v58, 0, v58, vcc                         // 00000000CAC0: 00747480
	v_add_u32_e32 v197, 0x43, v196                             // 00000000CAC4: 698B88FF 00000043
	v_cmp_lt_u32_e32 vcc, v197, v211                           // 00000000CACC: 7D93A7C5
	v_cndmask_b32_e32 v11, 0, v11, vcc                         // 00000000CAD0: 00161680
	v_cmp_lt_u32_e32 vcc, v197, v212                           // 00000000CAD4: 7D93A9C5
	v_cndmask_b32_e32 v27, 0, v27, vcc                         // 00000000CAD8: 00363680
	v_cmp_lt_u32_e32 vcc, v197, v213                           // 00000000CADC: 7D93ABC5
	v_cndmask_b32_e32 v43, 0, v43, vcc                         // 00000000CAE0: 00565680
	v_cmp_lt_u32_e32 vcc, v197, v214                           // 00000000CAE4: 7D93ADC5
	v_cndmask_b32_e32 v59, 0, v59, vcc                         // 00000000CAE8: 00767680
	v_add_u32_e32 v197, 0x80, v196                             // 00000000CAEC: 698B88FF 00000080
	v_cmp_lt_u32_e32 vcc, v197, v211                           // 00000000CAF4: 7D93A7C5
	v_cndmask_b32_e32 v12, 0, v12, vcc                         // 00000000CAF8: 00181880
	v_cmp_lt_u32_e32 vcc, v197, v212                           // 00000000CAFC: 7D93A9C5
	v_cndmask_b32_e32 v28, 0, v28, vcc                         // 00000000CB00: 00383880
	v_cmp_lt_u32_e32 vcc, v197, v213                           // 00000000CB04: 7D93ABC5
	v_cndmask_b32_e32 v44, 0, v44, vcc                         // 00000000CB08: 00585880
	v_cmp_lt_u32_e32 vcc, v197, v214                           // 00000000CB0C: 7D93ADC5
	v_cndmask_b32_e32 v60, 0, v60, vcc                         // 00000000CB10: 00787880
	v_add_u32_e32 v197, 0x81, v196                             // 00000000CB14: 698B88FF 00000081
	v_cmp_lt_u32_e32 vcc, v197, v211                           // 00000000CB1C: 7D93A7C5
	v_cndmask_b32_e32 v13, 0, v13, vcc                         // 00000000CB20: 001A1A80
	v_cmp_lt_u32_e32 vcc, v197, v212                           // 00000000CB24: 7D93A9C5
	v_cndmask_b32_e32 v29, 0, v29, vcc                         // 00000000CB28: 003A3A80
	v_cmp_lt_u32_e32 vcc, v197, v213                           // 00000000CB2C: 7D93ABC5
	v_cndmask_b32_e32 v45, 0, v45, vcc                         // 00000000CB30: 005A5A80
	v_cmp_lt_u32_e32 vcc, v197, v214                           // 00000000CB34: 7D93ADC5
	v_cndmask_b32_e32 v61, 0, v61, vcc                         // 00000000CB38: 007A7A80
	v_add_u32_e32 v197, 0x82, v196                             // 00000000CB3C: 698B88FF 00000082
	v_cmp_lt_u32_e32 vcc, v197, v211                           // 00000000CB44: 7D93A7C5
	v_cndmask_b32_e32 v14, 0, v14, vcc                         // 00000000CB48: 001C1C80
	v_cmp_lt_u32_e32 vcc, v197, v212                           // 00000000CB4C: 7D93A9C5
	v_cndmask_b32_e32 v30, 0, v30, vcc                         // 00000000CB50: 003C3C80
	v_cmp_lt_u32_e32 vcc, v197, v213                           // 00000000CB54: 7D93ABC5
	v_cndmask_b32_e32 v46, 0, v46, vcc                         // 00000000CB58: 005C5C80
	v_cmp_lt_u32_e32 vcc, v197, v214                           // 00000000CB5C: 7D93ADC5
	v_cndmask_b32_e32 v62, 0, v62, vcc                         // 00000000CB60: 007C7C80
	v_add_u32_e32 v197, 0x83, v196                             // 00000000CB64: 698B88FF 00000083
	v_cmp_lt_u32_e32 vcc, v197, v211                           // 00000000CB6C: 7D93A7C5
	v_cndmask_b32_e32 v15, 0, v15, vcc                         // 00000000CB70: 001E1E80
	v_cmp_lt_u32_e32 vcc, v197, v212                           // 00000000CB74: 7D93A9C5
	v_cndmask_b32_e32 v31, 0, v31, vcc                         // 00000000CB78: 003E3E80
	v_cmp_lt_u32_e32 vcc, v197, v213                           // 00000000CB7C: 7D93ABC5
	v_cndmask_b32_e32 v47, 0, v47, vcc                         // 00000000CB80: 005E5E80
	v_cmp_lt_u32_e32 vcc, v197, v214                           // 00000000CB84: 7D93ADC5
	v_cndmask_b32_e32 v63, 0, v63, vcc                         // 00000000CB88: 007E7E80
	v_add_u32_e32 v197, 0xc0, v196                             // 00000000CB8C: 698B88FF 000000C0
	v_cmp_lt_u32_e32 vcc, v197, v211                           // 00000000CB94: 7D93A7C5
	v_cndmask_b32_e32 v16, 0, v16, vcc                         // 00000000CB98: 00202080
	v_cmp_lt_u32_e32 vcc, v197, v212                           // 00000000CB9C: 7D93A9C5
	v_cndmask_b32_e32 v32, 0, v32, vcc                         // 00000000CBA0: 00404080
	v_cmp_lt_u32_e32 vcc, v197, v213                           // 00000000CBA4: 7D93ABC5
	v_cndmask_b32_e32 v48, 0, v48, vcc                         // 00000000CBA8: 00606080
	v_cmp_lt_u32_e32 vcc, v197, v214                           // 00000000CBAC: 7D93ADC5
	v_cndmask_b32_e32 v64, 0, v64, vcc                         // 00000000CBB0: 00808080
	v_add_u32_e32 v197, 0xc1, v196                             // 00000000CBB4: 698B88FF 000000C1
	v_cmp_lt_u32_e32 vcc, v197, v211                           // 00000000CBBC: 7D93A7C5
	v_cndmask_b32_e32 v17, 0, v17, vcc                         // 00000000CBC0: 00222280
	v_cmp_lt_u32_e32 vcc, v197, v212                           // 00000000CBC4: 7D93A9C5
	v_cndmask_b32_e32 v33, 0, v33, vcc                         // 00000000CBC8: 00424280
	v_cmp_lt_u32_e32 vcc, v197, v213                           // 00000000CBCC: 7D93ABC5
	v_cndmask_b32_e32 v49, 0, v49, vcc                         // 00000000CBD0: 00626280
	v_cmp_lt_u32_e32 vcc, v197, v214                           // 00000000CBD4: 7D93ADC5
	v_cndmask_b32_e32 v65, 0, v65, vcc                         // 00000000CBD8: 00828280
	v_add_u32_e32 v197, 0xc2, v196                             // 00000000CBDC: 698B88FF 000000C2
	v_cmp_lt_u32_e32 vcc, v197, v211                           // 00000000CBE4: 7D93A7C5
	v_cndmask_b32_e32 v18, 0, v18, vcc                         // 00000000CBE8: 00242480
	v_cmp_lt_u32_e32 vcc, v197, v212                           // 00000000CBEC: 7D93A9C5
	v_cndmask_b32_e32 v34, 0, v34, vcc                         // 00000000CBF0: 00444480
	v_cmp_lt_u32_e32 vcc, v197, v213                           // 00000000CBF4: 7D93ABC5
	v_cndmask_b32_e32 v50, 0, v50, vcc                         // 00000000CBF8: 00646480
	v_cmp_lt_u32_e32 vcc, v197, v214                           // 00000000CBFC: 7D93ADC5
	v_cndmask_b32_e32 v66, 0, v66, vcc                         // 00000000CC00: 00848480
	v_add_u32_e32 v197, 0xc3, v196                             // 00000000CC04: 698B88FF 000000C3
	v_cmp_lt_u32_e32 vcc, v197, v211                           // 00000000CC0C: 7D93A7C5
	v_cndmask_b32_e32 v19, 0, v19, vcc                         // 00000000CC10: 00262680
	v_cmp_lt_u32_e32 vcc, v197, v212                           // 00000000CC14: 7D93A9C5
	v_cndmask_b32_e32 v35, 0, v35, vcc                         // 00000000CC18: 00464680
	v_cmp_lt_u32_e32 vcc, v197, v213                           // 00000000CC1C: 7D93ABC5
	v_cndmask_b32_e32 v51, 0, v51, vcc                         // 00000000CC20: 00666680
	v_cmp_lt_u32_e32 vcc, v197, v214                           // 00000000CC24: 7D93ADC5
	v_cndmask_b32_e32 v67, 0, v67, vcc                         // 00000000CC28: 00868680
	buffer_load_dword v140, v231, s[20:23], 0 offen            // 00000000CC2C: E0501000 80058CE7
	s_waitcnt lgkmcnt(0)                                       // 00000000CC34: BF8CC07F
	s_barrier                                                  // 00000000CC38: BF8A0000
	buffer_load_dword v142, v232, s[24:27], 0 offen            // 00000000CC3C: E0501000 80068EE8
	s_waitcnt lgkmcnt(0)                                       // 00000000CC44: BF8CC07F
	v_sub_f32_e32 v176, v176, v152                             // 00000000CC48: 056131B0
	v_sub_f32_e32 v177, v177, v153                             // 00000000CC4C: 056333B1
	v_sub_f32_e32 v178, v178, v154                             // 00000000CC50: 056535B2
	v_sub_f32_e32 v179, v179, v155                             // 00000000CC54: 056737B3
	v_mul_f32_e32 v176, s46, v176                              // 00000000CC58: 0B61602E
	v_mul_f32_e32 v177, s46, v177                              // 00000000CC5C: 0B63622E
	v_mul_f32_e32 v178, s46, v178                              // 00000000CC60: 0B65642E
	v_mul_f32_e32 v179, s46, v179                              // 00000000CC64: 0B67662E
	v_exp_f32_e32 v176, v176                                   // 00000000CC68: 7F6041B0
	v_exp_f32_e32 v177, v177                                   // 00000000CC6C: 7F6241B1
	v_exp_f32_e32 v178, v178                                   // 00000000CC70: 7F6441B2
	v_exp_f32_e32 v179, v179                                   // 00000000CC74: 7F6641B3
	v_mul_f32_e32 v176, v143, v176                             // 00000000CC78: 0B61618F
	v_mul_f32_e32 v177, v143, v177                             // 00000000CC7C: 0B63638F
	v_mul_f32_e32 v178, v143, v178                             // 00000000CC80: 0B65658F
	v_mul_f32_e32 v179, v143, v179                             // 00000000CC84: 0B67678F
	v_add_f32_e32 v176, 0x3089705f, v176                       // 00000000CC88: 036160FF 3089705F
	v_add_f32_e32 v177, 0x3089705f, v177                       // 00000000CC90: 036362FF 3089705F
	v_add_f32_e32 v178, 0x3089705f, v178                       // 00000000CC98: 036564FF 3089705F
	v_add_f32_e32 v179, 0x3089705f, v179                       // 00000000CCA0: 036766FF 3089705F
	v_rcp_f32_e32 v176, v176                                   // 00000000CCA8: 7F6045B0
	v_rcp_f32_e32 v177, v177                                   // 00000000CCAC: 7F6245B1
	v_rcp_f32_e32 v178, v178                                   // 00000000CCB0: 7F6445B2
	v_rcp_f32_e32 v179, v179                                   // 00000000CCB4: 7F6645B3
	v_mul_f32_e32 v176, 0x43700000, v176                       // 00000000CCB8: 0B6160FF 43700000
	v_mul_f32_e32 v177, 0x43700000, v177                       // 00000000CCC0: 0B6362FF 43700000
	v_mul_f32_e32 v178, 0x43700000, v178                       // 00000000CCC8: 0B6564FF 43700000
	v_mul_f32_e32 v179, 0x43700000, v179                       // 00000000CCD0: 0B6766FF 43700000
	v_mul_f32_e32 v4, v176, v4                                 // 00000000CCD8: 0A0809B0
	v_mul_f32_e32 v5, v176, v5                                 // 00000000CCDC: 0A0A0BB0
	v_mul_f32_e32 v6, v176, v6                                 // 00000000CCE0: 0A0C0DB0
	v_mul_f32_e32 v7, v176, v7                                 // 00000000CCE4: 0A0E0FB0
	v_mul_f32_e32 v8, v176, v8                                 // 00000000CCE8: 0A1011B0
	v_mul_f32_e32 v9, v176, v9                                 // 00000000CCEC: 0A1213B0
	v_mul_f32_e32 v10, v176, v10                               // 00000000CCF0: 0A1415B0
	v_mul_f32_e32 v11, v176, v11                               // 00000000CCF4: 0A1617B0
	v_mul_f32_e32 v12, v176, v12                               // 00000000CCF8: 0A1819B0
	v_mul_f32_e32 v13, v176, v13                               // 00000000CCFC: 0A1A1BB0
	v_mul_f32_e32 v14, v176, v14                               // 00000000CD00: 0A1C1DB0
	v_mul_f32_e32 v15, v176, v15                               // 00000000CD04: 0A1E1FB0
	v_mul_f32_e32 v16, v176, v16                               // 00000000CD08: 0A2021B0
	v_mul_f32_e32 v17, v176, v17                               // 00000000CD0C: 0A2223B0
	v_mul_f32_e32 v18, v176, v18                               // 00000000CD10: 0A2425B0
	v_mul_f32_e32 v19, v176, v19                               // 00000000CD14: 0A2627B0
	v_mul_f32_e32 v20, v177, v20                               // 00000000CD18: 0A2829B1
	v_mul_f32_e32 v21, v177, v21                               // 00000000CD1C: 0A2A2BB1
	v_mul_f32_e32 v22, v177, v22                               // 00000000CD20: 0A2C2DB1
	v_mul_f32_e32 v23, v177, v23                               // 00000000CD24: 0A2E2FB1
	v_mul_f32_e32 v24, v177, v24                               // 00000000CD28: 0A3031B1
	v_mul_f32_e32 v25, v177, v25                               // 00000000CD2C: 0A3233B1
	v_mul_f32_e32 v26, v177, v26                               // 00000000CD30: 0A3435B1
	v_mul_f32_e32 v27, v177, v27                               // 00000000CD34: 0A3637B1
	v_mul_f32_e32 v28, v177, v28                               // 00000000CD38: 0A3839B1
	v_mul_f32_e32 v29, v177, v29                               // 00000000CD3C: 0A3A3BB1
	v_mul_f32_e32 v30, v177, v30                               // 00000000CD40: 0A3C3DB1
	v_mul_f32_e32 v31, v177, v31                               // 00000000CD44: 0A3E3FB1
	v_mul_f32_e32 v32, v177, v32                               // 00000000CD48: 0A4041B1
	v_mul_f32_e32 v33, v177, v33                               // 00000000CD4C: 0A4243B1
	v_mul_f32_e32 v34, v177, v34                               // 00000000CD50: 0A4445B1
	v_mul_f32_e32 v35, v177, v35                               // 00000000CD54: 0A4647B1
	v_mul_f32_e32 v36, v178, v36                               // 00000000CD58: 0A4849B2
	v_mul_f32_e32 v37, v178, v37                               // 00000000CD5C: 0A4A4BB2
	v_mul_f32_e32 v38, v178, v38                               // 00000000CD60: 0A4C4DB2
	v_mul_f32_e32 v39, v178, v39                               // 00000000CD64: 0A4E4FB2
	v_mul_f32_e32 v40, v178, v40                               // 00000000CD68: 0A5051B2
	v_mul_f32_e32 v41, v178, v41                               // 00000000CD6C: 0A5253B2
	v_mul_f32_e32 v42, v178, v42                               // 00000000CD70: 0A5455B2
	v_mul_f32_e32 v43, v178, v43                               // 00000000CD74: 0A5657B2
	v_mul_f32_e32 v44, v178, v44                               // 00000000CD78: 0A5859B2
	v_mul_f32_e32 v45, v178, v45                               // 00000000CD7C: 0A5A5BB2
	v_mul_f32_e32 v46, v178, v46                               // 00000000CD80: 0A5C5DB2
	v_mul_f32_e32 v47, v178, v47                               // 00000000CD84: 0A5E5FB2
	v_mul_f32_e32 v48, v178, v48                               // 00000000CD88: 0A6061B2
	v_mul_f32_e32 v49, v178, v49                               // 00000000CD8C: 0A6263B2
	v_mul_f32_e32 v50, v178, v50                               // 00000000CD90: 0A6465B2
	v_mul_f32_e32 v51, v178, v51                               // 00000000CD94: 0A6667B2
	v_mul_f32_e32 v52, v179, v52                               // 00000000CD98: 0A6869B3
	v_mul_f32_e32 v53, v179, v53                               // 00000000CD9C: 0A6A6BB3
	v_mul_f32_e32 v54, v179, v54                               // 00000000CDA0: 0A6C6DB3
	v_mul_f32_e32 v55, v179, v55                               // 00000000CDA4: 0A6E6FB3
	v_mul_f32_e32 v56, v179, v56                               // 00000000CDA8: 0A7071B3
	v_mul_f32_e32 v57, v179, v57                               // 00000000CDAC: 0A7273B3
	v_mul_f32_e32 v58, v179, v58                               // 00000000CDB0: 0A7475B3
	v_mul_f32_e32 v59, v179, v59                               // 00000000CDB4: 0A7677B3
	v_mul_f32_e32 v60, v179, v60                               // 00000000CDB8: 0A7879B3
	v_mul_f32_e32 v61, v179, v61                               // 00000000CDBC: 0A7A7BB3
	v_mul_f32_e32 v62, v179, v62                               // 00000000CDC0: 0A7C7DB3
	v_mul_f32_e32 v63, v179, v63                               // 00000000CDC4: 0A7E7FB3
	v_mul_f32_e32 v64, v179, v64                               // 00000000CDC8: 0A8081B3
	v_mul_f32_e32 v65, v179, v65                               // 00000000CDCC: 0A8283B3
	v_mul_f32_e32 v66, v179, v66                               // 00000000CDD0: 0A8485B3
	v_mul_f32_e32 v67, v179, v67                               // 00000000CDD4: 0A8687B3
	v_cvt_pk_fp8_f32 v4, v4, v5                                // 00000000CDD8: D2A20004 00020B04
	v_cvt_pk_fp8_f32 v4, v6, v7 op_sel:[0,0,1]                 // 00000000CDE0: D2A24004 00020F06
	v_cvt_pk_fp8_f32 v5, v8, v9                                // 00000000CDE8: D2A20005 00021308
	v_cvt_pk_fp8_f32 v5, v10, v11 op_sel:[0,0,1]               // 00000000CDF0: D2A24005 0002170A
	v_cvt_pk_fp8_f32 v6, v12, v13                              // 00000000CDF8: D2A20006 00021B0C
	v_cvt_pk_fp8_f32 v6, v14, v15 op_sel:[0,0,1]               // 00000000CE00: D2A24006 00021F0E
	v_cvt_pk_fp8_f32 v7, v16, v17                              // 00000000CE08: D2A20007 00022310
	v_cvt_pk_fp8_f32 v7, v18, v19 op_sel:[0,0,1]               // 00000000CE10: D2A24007 00022712
	v_cvt_pk_fp8_f32 v8, v20, v21                              // 00000000CE18: D2A20008 00022B14
	v_cvt_pk_fp8_f32 v8, v22, v23 op_sel:[0,0,1]               // 00000000CE20: D2A24008 00022F16
	v_cvt_pk_fp8_f32 v9, v24, v25                              // 00000000CE28: D2A20009 00023318
	v_cvt_pk_fp8_f32 v9, v26, v27 op_sel:[0,0,1]               // 00000000CE30: D2A24009 0002371A
	v_cvt_pk_fp8_f32 v10, v28, v29                             // 00000000CE38: D2A2000A 00023B1C
	v_cvt_pk_fp8_f32 v10, v30, v31 op_sel:[0,0,1]              // 00000000CE40: D2A2400A 00023F1E
	v_cvt_pk_fp8_f32 v11, v32, v33                             // 00000000CE48: D2A2000B 00024320
	v_cvt_pk_fp8_f32 v11, v34, v35 op_sel:[0,0,1]              // 00000000CE50: D2A2400B 00024722
	v_cvt_pk_fp8_f32 v12, v36, v37                             // 00000000CE58: D2A2000C 00024B24
	v_cvt_pk_fp8_f32 v12, v38, v39 op_sel:[0,0,1]              // 00000000CE60: D2A2400C 00024F26
	v_cvt_pk_fp8_f32 v13, v40, v41                             // 00000000CE68: D2A2000D 00025328
	v_cvt_pk_fp8_f32 v13, v42, v43 op_sel:[0,0,1]              // 00000000CE70: D2A2400D 0002572A
	v_cvt_pk_fp8_f32 v14, v44, v45                             // 00000000CE78: D2A2000E 00025B2C
	v_cvt_pk_fp8_f32 v14, v46, v47 op_sel:[0,0,1]              // 00000000CE80: D2A2400E 00025F2E
	v_cvt_pk_fp8_f32 v15, v48, v49                             // 00000000CE88: D2A2000F 00026330
	v_cvt_pk_fp8_f32 v15, v50, v51 op_sel:[0,0,1]              // 00000000CE90: D2A2400F 00026732
	v_cvt_pk_fp8_f32 v16, v52, v53                             // 00000000CE98: D2A20010 00026B34
	v_cvt_pk_fp8_f32 v16, v54, v55 op_sel:[0,0,1]              // 00000000CEA0: D2A24010 00026F36
	v_cvt_pk_fp8_f32 v17, v56, v57                             // 00000000CEA8: D2A20011 00027338
	v_cvt_pk_fp8_f32 v17, v58, v59 op_sel:[0,0,1]              // 00000000CEB0: D2A24011 0002773A
	v_cvt_pk_fp8_f32 v18, v60, v61                             // 00000000CEB8: D2A20012 00027B3C
	v_cvt_pk_fp8_f32 v18, v62, v63 op_sel:[0,0,1]              // 00000000CEC0: D2A24012 00027F3E
	v_cvt_pk_fp8_f32 v19, v64, v65                             // 00000000CEC8: D2A20013 00028340
	v_cvt_pk_fp8_f32 v19, v66, v67 op_sel:[0,0,1]              // 00000000CED0: D2A24013 00028742
	ds_write_b32 v249, v4 offset:8192                          // 00000000CED8: D81A2000 000004F9
	ds_write_b32 v249, v5 offset:9216                          // 00000000CEE0: D81A2400 000005F9
	ds_write_b32 v249, v6 offset:10240                         // 00000000CEE8: D81A2800 000006F9
	ds_write_b32 v249, v7 offset:11264                         // 00000000CEF0: D81A2C00 000007F9
	ds_write_b32 v249, v8 offset:12288                         // 00000000CEF8: D81A3000 000008F9
	ds_write_b32 v249, v9 offset:13312                         // 00000000CF00: D81A3400 000009F9
	ds_write_b32 v249, v10 offset:14336                        // 00000000CF08: D81A3800 00000AF9
	ds_write_b32 v249, v11 offset:15360                        // 00000000CF10: D81A3C00 00000BF9
	ds_write_b32 v249, v12 offset:16384                        // 00000000CF18: D81A4000 00000CF9
	ds_write_b32 v249, v13 offset:17408                        // 00000000CF20: D81A4400 00000DF9
	ds_write_b32 v249, v14 offset:18432                        // 00000000CF28: D81A4800 00000EF9
	ds_write_b32 v249, v15 offset:19456                        // 00000000CF30: D81A4C00 00000FF9
	ds_write_b32 v249, v16 offset:20480                        // 00000000CF38: D81A5000 000010F9
	ds_write_b32 v249, v17 offset:21504                        // 00000000CF40: D81A5400 000011F9
	ds_write_b32 v249, v18 offset:22528                        // 00000000CF48: D81A5800 000012F9
	ds_write_b32 v249, v19 offset:23552                        // 00000000CF50: D81A5C00 000013F9
	v_rcp_f32_e32 v144, v176                                   // 00000000CF58: 7F2045B0
	v_rcp_f32_e32 v146, v177                                   // 00000000CF5C: 7F2445B1
	v_rcp_f32_e32 v148, v178                                   // 00000000CF60: 7F2845B2
	v_rcp_f32_e32 v150, v179                                   // 00000000CF64: 7F2C45B3
	v_mov_b32_e32 v145, v144                                   // 00000000CF68: 7F220390
	v_mov_b32_e32 v147, v146                                   // 00000000CF6C: 7F260392
	v_mov_b32_e32 v149, v148                                   // 00000000CF70: 7F2A0394
	v_mov_b32_e32 v151, v150                                   // 00000000CF74: 7F2E0396
	v_pk_add_f32 v[100:101], v[100:101], v[68:69]              // 00000000CF78: D3B24064 18028964
	v_pk_add_f32 v[102:103], v[102:103], v[70:71]              // 00000000CF80: D3B24066 18028D66
	v_pk_add_f32 v[104:105], v[104:105], v[72:73]              // 00000000CF88: D3B24068 18029168
	v_pk_add_f32 v[106:107], v[106:107], v[74:75]              // 00000000CF90: D3B2406A 1802956A
	v_pk_add_f32 v[108:109], v[108:109], v[76:77]              // 00000000CF98: D3B2406C 1802996C
	v_pk_add_f32 v[110:111], v[110:111], v[78:79]              // 00000000CFA0: D3B2406E 18029D6E
	v_pk_add_f32 v[112:113], v[112:113], v[80:81]              // 00000000CFA8: D3B24070 1802A170
	v_pk_add_f32 v[114:115], v[114:115], v[82:83]              // 00000000CFB0: D3B24072 1802A572
	v_pk_add_f32 v[116:117], v[116:117], v[84:85]              // 00000000CFB8: D3B24074 1802A974
	v_pk_add_f32 v[118:119], v[118:119], v[86:87]              // 00000000CFC0: D3B24076 1802AD76
	v_pk_add_f32 v[120:121], v[120:121], v[88:89]              // 00000000CFC8: D3B24078 1802B178
	v_pk_add_f32 v[122:123], v[122:123], v[90:91]              // 00000000CFD0: D3B2407A 1802B57A
	v_pk_add_f32 v[124:125], v[124:125], v[92:93]              // 00000000CFD8: D3B2407C 1802B97C
	v_pk_add_f32 v[126:127], v[126:127], v[94:95]              // 00000000CFE0: D3B2407E 1802BD7E
	v_pk_add_f32 v[128:129], v[128:129], v[96:97]              // 00000000CFE8: D3B24080 1802C180
	v_pk_add_f32 v[130:131], v[130:131], v[98:99]              // 00000000CFF0: D3B24082 1802C582
	s_waitcnt lgkmcnt(0)                                       // 00000000CFF8: BF8CC07F
	s_barrier                                                  // 00000000CFFC: BF8A0000
	ds_read_b128 v[4:7], v250 offset:8192                      // 00000000D000: D9FE2000 040000FA
	ds_read_b128 v[8:11], v250 offset:9216                     // 00000000D008: D9FE2400 080000FA
	ds_read_b128 v[12:15], v250 offset:10240                   // 00000000D010: D9FE2800 0C0000FA
	ds_read_b128 v[16:19], v250 offset:11264                   // 00000000D018: D9FE2C00 100000FA
	ds_read_b128 v[20:23], v250 offset:12288                   // 00000000D020: D9FE3000 140000FA
	ds_read_b128 v[24:27], v250 offset:13312                   // 00000000D028: D9FE3400 180000FA
	ds_read_b128 v[28:31], v250 offset:14336                   // 00000000D030: D9FE3800 1C0000FA
	ds_read_b128 v[32:35], v250 offset:15360                   // 00000000D038: D9FE3C00 200000FA
	ds_read_b128 v[36:39], v250 offset:16384                   // 00000000D040: D9FE4000 240000FA
	ds_read_b128 v[40:43], v250 offset:17408                   // 00000000D048: D9FE4400 280000FA
	ds_read_b128 v[44:47], v250 offset:18432                   // 00000000D050: D9FE4800 2C0000FA
	ds_read_b128 v[48:51], v250 offset:19456                   // 00000000D058: D9FE4C00 300000FA
	ds_read_b128 v[52:55], v250 offset:20480                   // 00000000D060: D9FE5000 340000FA
	ds_read_b128 v[56:59], v250 offset:21504                   // 00000000D068: D9FE5400 380000FA
	ds_read_b128 v[60:63], v250 offset:22528                   // 00000000D070: D9FE5800 3C0000FA
	ds_read_b128 v[64:67], v250 offset:23552                   // 00000000D078: D9FE5C00 400000FA
	s_waitcnt vmcnt(10)                                        // 00000000D080: BF8C0F7A
	v_lshrrev_b32_e32 v203, 4, v0                              // 00000000D084: 21960084
	v_lshlrev_b32_e32 v203, 4, v203                            // 00000000D088: 25979684
	v_add_u32_e32 v196, s64, v203                              // 00000000D08C: 69899640
	v_add_u32_e32 v196, 4, v196                                // 00000000D090: 69898884
	v_sub_i32 v196, v196, s62                                  // 00000000D094: D29D00C4 00007DC4
	s_mov_b32 s54, 0                                           // 00000000D09C: BEB60080
	v_add_i32 v197, s54, v196                                  // 00000000D0A0: D29C00C5 00038836
	v_cmp_lt_i32_e64 vcc, v197, 4                              // 00000000D0A8: D0C1006A 000109C5
	v_min_u32_e32 v197, 4, v197                                // 00000000D0B0: 1D8B8A84
	v_lshlrev_b32_e32 v197, 3, v197                            // 00000000D0B4: 258B8A83
	v_lshrrev_b32_e64 v198, v197, -1                           // 00000000D0B8: D11000C6 000183C5
	v_accvgpr_read_b32 v199, a128                              // 00000000D0C0: D3D840C7 18000180
	v_cndmask_b32_e32 v199, 0, v199, vcc                       // 00000000D0C8: 018F8E80
	v_and_b32_e32 v199, v199, v198                             // 00000000D0CC: 278F8DC7
	v_accvgpr_write_b32 a128, v199                             // 00000000D0D0: D3D94080 180001C7
	v_accvgpr_read_b32 v199, a144                              // 00000000D0D8: D3D840C7 18000190
	v_cndmask_b32_e32 v199, 0, v199, vcc                       // 00000000D0E0: 018F8E80
	v_and_b32_e32 v199, v199, v198                             // 00000000D0E4: 278F8DC7
	v_accvgpr_write_b32 a144, v199                             // 00000000D0E8: D3D94090 180001C7
	s_mov_b32 s54, 4                                           // 00000000D0F0: BEB60084
	v_add_i32 v197, s54, v196                                  // 00000000D0F4: D29C00C5 00038836
	v_cmp_lt_i32_e64 vcc, v197, 4                              // 00000000D0FC: D0C1006A 000109C5
	v_min_u32_e32 v197, 4, v197                                // 00000000D104: 1D8B8A84
	v_lshlrev_b32_e32 v197, 3, v197                            // 00000000D108: 258B8A83
	v_lshrrev_b32_e64 v198, v197, -1                           // 00000000D10C: D11000C6 000183C5
	v_accvgpr_read_b32 v199, a129                              // 00000000D114: D3D840C7 18000181
	v_cndmask_b32_e32 v199, 0, v199, vcc                       // 00000000D11C: 018F8E80
	v_and_b32_e32 v199, v199, v198                             // 00000000D120: 278F8DC7
	v_accvgpr_write_b32 a129, v199                             // 00000000D124: D3D94081 180001C7
	v_accvgpr_read_b32 v199, a145                              // 00000000D12C: D3D840C7 18000191
	v_cndmask_b32_e32 v199, 0, v199, vcc                       // 00000000D134: 018F8E80
	v_and_b32_e32 v199, v199, v198                             // 00000000D138: 278F8DC7
	v_accvgpr_write_b32 a145, v199                             // 00000000D13C: D3D94091 180001C7
	s_mov_b32 s54, 8                                           // 00000000D144: BEB60088
	v_add_i32 v197, s54, v196                                  // 00000000D148: D29C00C5 00038836
	v_cmp_lt_i32_e64 vcc, v197, 4                              // 00000000D150: D0C1006A 000109C5
	v_min_u32_e32 v197, 4, v197                                // 00000000D158: 1D8B8A84
	v_lshlrev_b32_e32 v197, 3, v197                            // 00000000D15C: 258B8A83
	v_lshrrev_b32_e64 v198, v197, -1                           // 00000000D160: D11000C6 000183C5
	v_accvgpr_read_b32 v199, a130                              // 00000000D168: D3D840C7 18000182
	v_cndmask_b32_e32 v199, 0, v199, vcc                       // 00000000D170: 018F8E80
	v_and_b32_e32 v199, v199, v198                             // 00000000D174: 278F8DC7
	v_accvgpr_write_b32 a130, v199                             // 00000000D178: D3D94082 180001C7
	v_accvgpr_read_b32 v199, a146                              // 00000000D180: D3D840C7 18000192
	v_cndmask_b32_e32 v199, 0, v199, vcc                       // 00000000D188: 018F8E80
	v_and_b32_e32 v199, v199, v198                             // 00000000D18C: 278F8DC7
	v_accvgpr_write_b32 a146, v199                             // 00000000D190: D3D94092 180001C7
	s_mov_b32 s54, 12                                          // 00000000D198: BEB6008C
	v_add_i32 v197, s54, v196                                  // 00000000D19C: D29C00C5 00038836
	v_cmp_lt_i32_e64 vcc, v197, 4                              // 00000000D1A4: D0C1006A 000109C5
	v_min_u32_e32 v197, 4, v197                                // 00000000D1AC: 1D8B8A84
	v_lshlrev_b32_e32 v197, 3, v197                            // 00000000D1B0: 258B8A83
	v_lshrrev_b32_e64 v198, v197, -1                           // 00000000D1B4: D11000C6 000183C5
	v_accvgpr_read_b32 v199, a131                              // 00000000D1BC: D3D840C7 18000183
	v_cndmask_b32_e32 v199, 0, v199, vcc                       // 00000000D1C4: 018F8E80
	v_and_b32_e32 v199, v199, v198                             // 00000000D1C8: 278F8DC7
	v_accvgpr_write_b32 a131, v199                             // 00000000D1CC: D3D94083 180001C7
	v_accvgpr_read_b32 v199, a147                              // 00000000D1D4: D3D840C7 18000193
	v_cndmask_b32_e32 v199, 0, v199, vcc                       // 00000000D1DC: 018F8E80
	v_and_b32_e32 v199, v199, v198                             // 00000000D1E0: 278F8DC7
	v_accvgpr_write_b32 a147, v199                             // 00000000D1E4: D3D94093 180001C7
	s_mov_b32 s54, 64                                          // 00000000D1EC: BEB600C0
	v_add_i32 v197, s54, v196                                  // 00000000D1F0: D29C00C5 00038836
	v_cmp_lt_i32_e64 vcc, v197, 4                              // 00000000D1F8: D0C1006A 000109C5
	v_min_u32_e32 v197, 4, v197                                // 00000000D200: 1D8B8A84
	v_lshlrev_b32_e32 v197, 3, v197                            // 00000000D204: 258B8A83
	v_lshrrev_b32_e64 v198, v197, -1                           // 00000000D208: D11000C6 000183C5
	v_accvgpr_read_b32 v199, a132                              // 00000000D210: D3D840C7 18000184
	v_cndmask_b32_e32 v199, 0, v199, vcc                       // 00000000D218: 018F8E80
	v_and_b32_e32 v199, v199, v198                             // 00000000D21C: 278F8DC7
	v_accvgpr_write_b32 a132, v199                             // 00000000D220: D3D94084 180001C7
	v_accvgpr_read_b32 v199, a148                              // 00000000D228: D3D840C7 18000194
	v_cndmask_b32_e32 v199, 0, v199, vcc                       // 00000000D230: 018F8E80
	v_and_b32_e32 v199, v199, v198                             // 00000000D234: 278F8DC7
	v_accvgpr_write_b32 a148, v199                             // 00000000D238: D3D94094 180001C7
	s_mov_b32 s54, 0x44                                        // 00000000D240: BEB600FF 00000044
	v_add_i32 v197, s54, v196                                  // 00000000D248: D29C00C5 00038836
	v_cmp_lt_i32_e64 vcc, v197, 4                              // 00000000D250: D0C1006A 000109C5
	v_min_u32_e32 v197, 4, v197                                // 00000000D258: 1D8B8A84
	v_lshlrev_b32_e32 v197, 3, v197                            // 00000000D25C: 258B8A83
	v_lshrrev_b32_e64 v198, v197, -1                           // 00000000D260: D11000C6 000183C5
	v_accvgpr_read_b32 v199, a133                              // 00000000D268: D3D840C7 18000185
	v_cndmask_b32_e32 v199, 0, v199, vcc                       // 00000000D270: 018F8E80
	v_and_b32_e32 v199, v199, v198                             // 00000000D274: 278F8DC7
	v_accvgpr_write_b32 a133, v199                             // 00000000D278: D3D94085 180001C7
	v_accvgpr_read_b32 v199, a149                              // 00000000D280: D3D840C7 18000195
	v_cndmask_b32_e32 v199, 0, v199, vcc                       // 00000000D288: 018F8E80
	v_and_b32_e32 v199, v199, v198                             // 00000000D28C: 278F8DC7
	v_accvgpr_write_b32 a149, v199                             // 00000000D290: D3D94095 180001C7
	s_mov_b32 s54, 0x48                                        // 00000000D298: BEB600FF 00000048
	v_add_i32 v197, s54, v196                                  // 00000000D2A0: D29C00C5 00038836
	v_cmp_lt_i32_e64 vcc, v197, 4                              // 00000000D2A8: D0C1006A 000109C5
	v_min_u32_e32 v197, 4, v197                                // 00000000D2B0: 1D8B8A84
	v_lshlrev_b32_e32 v197, 3, v197                            // 00000000D2B4: 258B8A83
	v_lshrrev_b32_e64 v198, v197, -1                           // 00000000D2B8: D11000C6 000183C5
	v_accvgpr_read_b32 v199, a134                              // 00000000D2C0: D3D840C7 18000186
	v_cndmask_b32_e32 v199, 0, v199, vcc                       // 00000000D2C8: 018F8E80
	v_and_b32_e32 v199, v199, v198                             // 00000000D2CC: 278F8DC7
	v_accvgpr_write_b32 a134, v199                             // 00000000D2D0: D3D94086 180001C7
	v_accvgpr_read_b32 v199, a150                              // 00000000D2D8: D3D840C7 18000196
	v_cndmask_b32_e32 v199, 0, v199, vcc                       // 00000000D2E0: 018F8E80
	v_and_b32_e32 v199, v199, v198                             // 00000000D2E4: 278F8DC7
	v_accvgpr_write_b32 a150, v199                             // 00000000D2E8: D3D94096 180001C7
	s_mov_b32 s54, 0x4c                                        // 00000000D2F0: BEB600FF 0000004C
	v_add_i32 v197, s54, v196                                  // 00000000D2F8: D29C00C5 00038836
	v_cmp_lt_i32_e64 vcc, v197, 4                              // 00000000D300: D0C1006A 000109C5
	v_min_u32_e32 v197, 4, v197                                // 00000000D308: 1D8B8A84
	v_lshlrev_b32_e32 v197, 3, v197                            // 00000000D30C: 258B8A83
	v_lshrrev_b32_e64 v198, v197, -1                           // 00000000D310: D11000C6 000183C5
	v_accvgpr_read_b32 v199, a135                              // 00000000D318: D3D840C7 18000187
	v_cndmask_b32_e32 v199, 0, v199, vcc                       // 00000000D320: 018F8E80
	v_and_b32_e32 v199, v199, v198                             // 00000000D324: 278F8DC7
	v_accvgpr_write_b32 a135, v199                             // 00000000D328: D3D94087 180001C7
	v_accvgpr_read_b32 v199, a151                              // 00000000D330: D3D840C7 18000197
	v_cndmask_b32_e32 v199, 0, v199, vcc                       // 00000000D338: 018F8E80
	v_and_b32_e32 v199, v199, v198                             // 00000000D33C: 278F8DC7
	v_accvgpr_write_b32 a151, v199                             // 00000000D340: D3D94097 180001C7
	s_mov_b32 s54, 0x80                                        // 00000000D348: BEB600FF 00000080
	v_add_i32 v197, s54, v196                                  // 00000000D350: D29C00C5 00038836
	v_cmp_lt_i32_e64 vcc, v197, 4                              // 00000000D358: D0C1006A 000109C5
	v_min_u32_e32 v197, 4, v197                                // 00000000D360: 1D8B8A84
	v_lshlrev_b32_e32 v197, 3, v197                            // 00000000D364: 258B8A83
	v_lshrrev_b32_e64 v198, v197, -1                           // 00000000D368: D11000C6 000183C5
	v_accvgpr_read_b32 v199, a136                              // 00000000D370: D3D840C7 18000188
	v_cndmask_b32_e32 v199, 0, v199, vcc                       // 00000000D378: 018F8E80
	v_and_b32_e32 v199, v199, v198                             // 00000000D37C: 278F8DC7
	v_accvgpr_write_b32 a136, v199                             // 00000000D380: D3D94088 180001C7
	v_accvgpr_read_b32 v199, a152                              // 00000000D388: D3D840C7 18000198
	v_cndmask_b32_e32 v199, 0, v199, vcc                       // 00000000D390: 018F8E80
	v_and_b32_e32 v199, v199, v198                             // 00000000D394: 278F8DC7
	v_accvgpr_write_b32 a152, v199                             // 00000000D398: D3D94098 180001C7
	s_mov_b32 s54, 0x84                                        // 00000000D3A0: BEB600FF 00000084
	v_add_i32 v197, s54, v196                                  // 00000000D3A8: D29C00C5 00038836
	v_cmp_lt_i32_e64 vcc, v197, 4                              // 00000000D3B0: D0C1006A 000109C5
	v_min_u32_e32 v197, 4, v197                                // 00000000D3B8: 1D8B8A84
	v_lshlrev_b32_e32 v197, 3, v197                            // 00000000D3BC: 258B8A83
	v_lshrrev_b32_e64 v198, v197, -1                           // 00000000D3C0: D11000C6 000183C5
	v_accvgpr_read_b32 v199, a137                              // 00000000D3C8: D3D840C7 18000189
	v_cndmask_b32_e32 v199, 0, v199, vcc                       // 00000000D3D0: 018F8E80
	v_and_b32_e32 v199, v199, v198                             // 00000000D3D4: 278F8DC7
	v_accvgpr_write_b32 a137, v199                             // 00000000D3D8: D3D94089 180001C7
	v_accvgpr_read_b32 v199, a153                              // 00000000D3E0: D3D840C7 18000199
	v_cndmask_b32_e32 v199, 0, v199, vcc                       // 00000000D3E8: 018F8E80
	v_and_b32_e32 v199, v199, v198                             // 00000000D3EC: 278F8DC7
	v_accvgpr_write_b32 a153, v199                             // 00000000D3F0: D3D94099 180001C7
	s_mov_b32 s54, 0x88                                        // 00000000D3F8: BEB600FF 00000088
	v_add_i32 v197, s54, v196                                  // 00000000D400: D29C00C5 00038836
	v_cmp_lt_i32_e64 vcc, v197, 4                              // 00000000D408: D0C1006A 000109C5
	v_min_u32_e32 v197, 4, v197                                // 00000000D410: 1D8B8A84
	v_lshlrev_b32_e32 v197, 3, v197                            // 00000000D414: 258B8A83
	v_lshrrev_b32_e64 v198, v197, -1                           // 00000000D418: D11000C6 000183C5
	v_accvgpr_read_b32 v199, a138                              // 00000000D420: D3D840C7 1800018A
	v_cndmask_b32_e32 v199, 0, v199, vcc                       // 00000000D428: 018F8E80
	v_and_b32_e32 v199, v199, v198                             // 00000000D42C: 278F8DC7
	v_accvgpr_write_b32 a138, v199                             // 00000000D430: D3D9408A 180001C7
	v_accvgpr_read_b32 v199, a154                              // 00000000D438: D3D840C7 1800019A
	v_cndmask_b32_e32 v199, 0, v199, vcc                       // 00000000D440: 018F8E80
	v_and_b32_e32 v199, v199, v198                             // 00000000D444: 278F8DC7
	v_accvgpr_write_b32 a154, v199                             // 00000000D448: D3D9409A 180001C7
	s_mov_b32 s54, 0x8c                                        // 00000000D450: BEB600FF 0000008C
	v_add_i32 v197, s54, v196                                  // 00000000D458: D29C00C5 00038836
	v_cmp_lt_i32_e64 vcc, v197, 4                              // 00000000D460: D0C1006A 000109C5
	v_min_u32_e32 v197, 4, v197                                // 00000000D468: 1D8B8A84
	v_lshlrev_b32_e32 v197, 3, v197                            // 00000000D46C: 258B8A83
	v_lshrrev_b32_e64 v198, v197, -1                           // 00000000D470: D11000C6 000183C5
	v_accvgpr_read_b32 v199, a139                              // 00000000D478: D3D840C7 1800018B
	v_cndmask_b32_e32 v199, 0, v199, vcc                       // 00000000D480: 018F8E80
	v_and_b32_e32 v199, v199, v198                             // 00000000D484: 278F8DC7
	v_accvgpr_write_b32 a139, v199                             // 00000000D488: D3D9408B 180001C7
	v_accvgpr_read_b32 v199, a155                              // 00000000D490: D3D840C7 1800019B
	v_cndmask_b32_e32 v199, 0, v199, vcc                       // 00000000D498: 018F8E80
	v_and_b32_e32 v199, v199, v198                             // 00000000D49C: 278F8DC7
	v_accvgpr_write_b32 a155, v199                             // 00000000D4A0: D3D9409B 180001C7
	s_mov_b32 s54, 0xc0                                        // 00000000D4A8: BEB600FF 000000C0
	v_add_i32 v197, s54, v196                                  // 00000000D4B0: D29C00C5 00038836
	v_cmp_lt_i32_e64 vcc, v197, 4                              // 00000000D4B8: D0C1006A 000109C5
	v_min_u32_e32 v197, 4, v197                                // 00000000D4C0: 1D8B8A84
	v_lshlrev_b32_e32 v197, 3, v197                            // 00000000D4C4: 258B8A83
	v_lshrrev_b32_e64 v198, v197, -1                           // 00000000D4C8: D11000C6 000183C5
	v_accvgpr_read_b32 v199, a140                              // 00000000D4D0: D3D840C7 1800018C
	v_cndmask_b32_e32 v199, 0, v199, vcc                       // 00000000D4D8: 018F8E80
	v_and_b32_e32 v199, v199, v198                             // 00000000D4DC: 278F8DC7
	v_accvgpr_write_b32 a140, v199                             // 00000000D4E0: D3D9408C 180001C7
	v_accvgpr_read_b32 v199, a156                              // 00000000D4E8: D3D840C7 1800019C
	v_cndmask_b32_e32 v199, 0, v199, vcc                       // 00000000D4F0: 018F8E80
	v_and_b32_e32 v199, v199, v198                             // 00000000D4F4: 278F8DC7
	v_accvgpr_write_b32 a156, v199                             // 00000000D4F8: D3D9409C 180001C7
	s_mov_b32 s54, 0xc4                                        // 00000000D500: BEB600FF 000000C4
	v_add_i32 v197, s54, v196                                  // 00000000D508: D29C00C5 00038836
	v_cmp_lt_i32_e64 vcc, v197, 4                              // 00000000D510: D0C1006A 000109C5
	v_min_u32_e32 v197, 4, v197                                // 00000000D518: 1D8B8A84
	v_lshlrev_b32_e32 v197, 3, v197                            // 00000000D51C: 258B8A83
	v_lshrrev_b32_e64 v198, v197, -1                           // 00000000D520: D11000C6 000183C5
	v_accvgpr_read_b32 v199, a141                              // 00000000D528: D3D840C7 1800018D
	v_cndmask_b32_e32 v199, 0, v199, vcc                       // 00000000D530: 018F8E80
	v_and_b32_e32 v199, v199, v198                             // 00000000D534: 278F8DC7
	v_accvgpr_write_b32 a141, v199                             // 00000000D538: D3D9408D 180001C7
	v_accvgpr_read_b32 v199, a157                              // 00000000D540: D3D840C7 1800019D
	v_cndmask_b32_e32 v199, 0, v199, vcc                       // 00000000D548: 018F8E80
	v_and_b32_e32 v199, v199, v198                             // 00000000D54C: 278F8DC7
	v_accvgpr_write_b32 a157, v199                             // 00000000D550: D3D9409D 180001C7
	s_mov_b32 s54, 0xc8                                        // 00000000D558: BEB600FF 000000C8
	v_add_i32 v197, s54, v196                                  // 00000000D560: D29C00C5 00038836
	v_cmp_lt_i32_e64 vcc, v197, 4                              // 00000000D568: D0C1006A 000109C5
	v_min_u32_e32 v197, 4, v197                                // 00000000D570: 1D8B8A84
	v_lshlrev_b32_e32 v197, 3, v197                            // 00000000D574: 258B8A83
	v_lshrrev_b32_e64 v198, v197, -1                           // 00000000D578: D11000C6 000183C5
	v_accvgpr_read_b32 v199, a142                              // 00000000D580: D3D840C7 1800018E
	v_cndmask_b32_e32 v199, 0, v199, vcc                       // 00000000D588: 018F8E80
	v_and_b32_e32 v199, v199, v198                             // 00000000D58C: 278F8DC7
	v_accvgpr_write_b32 a142, v199                             // 00000000D590: D3D9408E 180001C7
	v_accvgpr_read_b32 v199, a158                              // 00000000D598: D3D840C7 1800019E
	v_cndmask_b32_e32 v199, 0, v199, vcc                       // 00000000D5A0: 018F8E80
	v_and_b32_e32 v199, v199, v198                             // 00000000D5A4: 278F8DC7
	v_accvgpr_write_b32 a158, v199                             // 00000000D5A8: D3D9409E 180001C7
	s_mov_b32 s54, 0xcc                                        // 00000000D5B0: BEB600FF 000000CC
	v_add_i32 v197, s54, v196                                  // 00000000D5B8: D29C00C5 00038836
	v_cmp_lt_i32_e64 vcc, v197, 4                              // 00000000D5C0: D0C1006A 000109C5
	v_min_u32_e32 v197, 4, v197                                // 00000000D5C8: 1D8B8A84
	v_lshlrev_b32_e32 v197, 3, v197                            // 00000000D5CC: 258B8A83
	v_lshrrev_b32_e64 v198, v197, -1                           // 00000000D5D0: D11000C6 000183C5
	v_accvgpr_read_b32 v199, a143                              // 00000000D5D8: D3D840C7 1800018F
	v_cndmask_b32_e32 v199, 0, v199, vcc                       // 00000000D5E0: 018F8E80
	v_and_b32_e32 v199, v199, v198                             // 00000000D5E4: 278F8DC7
	v_accvgpr_write_b32 a143, v199                             // 00000000D5E8: D3D9408F 180001C7
	v_accvgpr_read_b32 v199, a159                              // 00000000D5F0: D3D840C7 1800019F
	v_cndmask_b32_e32 v199, 0, v199, vcc                       // 00000000D5F8: 018F8E80
	v_and_b32_e32 v199, v199, v198                             // 00000000D5FC: 278F8DC7
	v_accvgpr_write_b32 a159, v199                             // 00000000D600: D3D9409F 180001C7
	s_waitcnt vmcnt(63) expcnt(7) lgkmcnt(15)                  // 00000000D608: BF8CCF7F
	v_mfma_f32_16x16x32_fp8_fp8 v[68:71], a[128:129], v[4:5], 0// 00000000D60C: D3F30044 0A020980
	v_mfma_f32_16x16x32_fp8_fp8 v[72:75], a[144:145], v[4:5], 0// 00000000D614: D3F30048 0A020990
	v_mfma_f32_16x16x32_fp8_fp8 v[68:71], a[130:131], v[6:7], v[68:71]// 00000000D61C: D3F30044 0D120D82
	buffer_load_dwordx4 a[96:99], v227, s[16:19], 0 offen      // 00000000D624: E05C1000 808460E3
	v_mfma_f32_16x16x32_fp8_fp8 v[72:75], a[146:147], v[6:7], v[72:75]// 00000000D62C: D3F30048 0D220D92
	s_waitcnt lgkmcnt(14)                                      // 00000000D634: BF8CCE7F
	v_mfma_f32_16x16x32_fp8_fp8 v[68:71], a[132:133], v[8:9], v[68:71]// 00000000D638: D3F30044 0D121184
	v_mfma_f32_16x16x32_fp8_fp8 v[72:75], a[148:149], v[8:9], v[72:75]// 00000000D640: D3F30048 0D221194
	v_mfma_f32_16x16x32_fp8_fp8 v[68:71], a[134:135], v[10:11], v[68:71]// 00000000D648: D3F30044 0D121586
	buffer_load_dwordx4 a[100:103], v228, s[16:19], 0 offen    // 00000000D650: E05C1000 808464E4
	v_mfma_f32_16x16x32_fp8_fp8 v[72:75], a[150:151], v[10:11], v[72:75]// 00000000D658: D3F30048 0D221596
	s_waitcnt lgkmcnt(13)                                      // 00000000D660: BF8CCD7F
	v_mfma_f32_16x16x32_fp8_fp8 v[68:71], a[136:137], v[12:13], v[68:71]// 00000000D664: D3F30044 0D121988
	v_mfma_f32_16x16x32_fp8_fp8 v[72:75], a[152:153], v[12:13], v[72:75]// 00000000D66C: D3F30048 0D221998
	v_mfma_f32_16x16x32_fp8_fp8 v[68:71], a[138:139], v[14:15], v[68:71]// 00000000D674: D3F30044 0D121D8A
	buffer_load_dwordx4 a[104:107], v229, s[16:19], 0 offen    // 00000000D67C: E05C1000 808468E5
	v_mfma_f32_16x16x32_fp8_fp8 v[72:75], a[154:155], v[14:15], v[72:75]// 00000000D684: D3F30048 0D221D9A
	s_waitcnt lgkmcnt(12)                                      // 00000000D68C: BF8CCC7F
	v_mfma_f32_16x16x32_fp8_fp8 v[68:71], a[140:141], v[16:17], v[68:71]// 00000000D690: D3F30044 0D12218C
	v_mfma_f32_16x16x32_fp8_fp8 v[72:75], a[156:157], v[16:17], v[72:75]// 00000000D698: D3F30048 0D22219C
	v_mfma_f32_16x16x32_fp8_fp8 v[68:71], a[142:143], v[18:19], v[68:71]// 00000000D6A0: D3F30044 0D12258E
	buffer_load_dwordx4 a[108:111], v230, s[16:19], 0 offen    // 00000000D6A8: E05C1000 80846CE6
	v_mfma_f32_16x16x32_fp8_fp8 v[72:75], a[158:159], v[18:19], v[72:75]// 00000000D6B0: D3F30048 0D22259E
	s_waitcnt lgkmcnt(11)                                      // 00000000D6B8: BF8CCB7F
	v_mfma_f32_16x16x32_fp8_fp8 v[76:79], a[128:129], v[20:21], 0// 00000000D6BC: D3F3004C 0A022980
	v_mfma_f32_16x16x32_fp8_fp8 v[80:83], a[144:145], v[20:21], 0// 00000000D6C4: D3F30050 0A022990
	v_mfma_f32_16x16x32_fp8_fp8 v[76:79], a[130:131], v[22:23], v[76:79]// 00000000D6CC: D3F3004C 0D322D82
	buffer_load_dwordx4 a[112:115], v227, s[16:19], 0 offen offset:1024// 00000000D6D4: E05C1400 808470E3
	v_mfma_f32_16x16x32_fp8_fp8 v[80:83], a[146:147], v[22:23], v[80:83]// 00000000D6DC: D3F30050 0D422D92
	s_waitcnt lgkmcnt(10)                                      // 00000000D6E4: BF8CCA7F
	v_mfma_f32_16x16x32_fp8_fp8 v[76:79], a[132:133], v[24:25], v[76:79]// 00000000D6E8: D3F3004C 0D323184
	v_mfma_f32_16x16x32_fp8_fp8 v[80:83], a[148:149], v[24:25], v[80:83]// 00000000D6F0: D3F30050 0D423194
	v_mfma_f32_16x16x32_fp8_fp8 v[76:79], a[134:135], v[26:27], v[76:79]// 00000000D6F8: D3F3004C 0D323586
	buffer_load_dwordx4 a[116:119], v228, s[16:19], 0 offen offset:1024// 00000000D700: E05C1400 808474E4
	v_mfma_f32_16x16x32_fp8_fp8 v[80:83], a[150:151], v[26:27], v[80:83]// 00000000D708: D3F30050 0D423596
	s_waitcnt lgkmcnt(9)                                       // 00000000D710: BF8CC97F
	v_mfma_f32_16x16x32_fp8_fp8 v[76:79], a[136:137], v[28:29], v[76:79]// 00000000D714: D3F3004C 0D323988
	v_mfma_f32_16x16x32_fp8_fp8 v[80:83], a[152:153], v[28:29], v[80:83]// 00000000D71C: D3F30050 0D423998
	v_mfma_f32_16x16x32_fp8_fp8 v[76:79], a[138:139], v[30:31], v[76:79]// 00000000D724: D3F3004C 0D323D8A
	buffer_load_dwordx4 a[120:123], v229, s[16:19], 0 offen offset:1024// 00000000D72C: E05C1400 808478E5
	v_mfma_f32_16x16x32_fp8_fp8 v[80:83], a[154:155], v[30:31], v[80:83]// 00000000D734: D3F30050 0D423D9A
	s_waitcnt lgkmcnt(8)                                       // 00000000D73C: BF8CC87F
	v_mfma_f32_16x16x32_fp8_fp8 v[76:79], a[140:141], v[32:33], v[76:79]// 00000000D740: D3F3004C 0D32418C
	v_mfma_f32_16x16x32_fp8_fp8 v[80:83], a[156:157], v[32:33], v[80:83]// 00000000D748: D3F30050 0D42419C
	v_mfma_f32_16x16x32_fp8_fp8 v[76:79], a[142:143], v[34:35], v[76:79]// 00000000D750: D3F3004C 0D32458E
	buffer_load_dwordx4 a[124:127], v230, s[16:19], 0 offen offset:1024// 00000000D758: E05C1400 80847CE6
	v_mfma_f32_16x16x32_fp8_fp8 v[80:83], a[158:159], v[34:35], v[80:83]// 00000000D760: D3F30050 0D42459E
	s_waitcnt lgkmcnt(7)                                       // 00000000D768: BF8CC77F
	v_mfma_f32_16x16x32_fp8_fp8 v[84:87], a[128:129], v[36:37], 0// 00000000D76C: D3F30054 0A024980
	v_mfma_f32_16x16x32_fp8_fp8 v[88:91], a[144:145], v[36:37], 0// 00000000D774: D3F30058 0A024990
	v_mfma_f32_16x16x32_fp8_fp8 v[84:87], a[130:131], v[38:39], v[84:87]// 00000000D77C: D3F30054 0D524D82
	v_mfma_f32_16x16x32_fp8_fp8 v[88:91], a[146:147], v[38:39], v[88:91]// 00000000D784: D3F30058 0D624D92
	s_waitcnt lgkmcnt(6)                                       // 00000000D78C: BF8CC67F
	v_mfma_f32_16x16x32_fp8_fp8 v[84:87], a[132:133], v[40:41], v[84:87]// 00000000D790: D3F30054 0D525184
	v_mfma_f32_16x16x32_fp8_fp8 v[88:91], a[148:149], v[40:41], v[88:91]// 00000000D798: D3F30058 0D625194
	v_mfma_f32_16x16x32_fp8_fp8 v[84:87], a[134:135], v[42:43], v[84:87]// 00000000D7A0: D3F30054 0D525586
	v_mfma_f32_16x16x32_fp8_fp8 v[88:91], a[150:151], v[42:43], v[88:91]// 00000000D7A8: D3F30058 0D625596
	s_waitcnt lgkmcnt(5)                                       // 00000000D7B0: BF8CC57F
	v_mfma_f32_16x16x32_fp8_fp8 v[84:87], a[136:137], v[44:45], v[84:87]// 00000000D7B4: D3F30054 0D525988
	v_mfma_f32_16x16x32_fp8_fp8 v[88:91], a[152:153], v[44:45], v[88:91]// 00000000D7BC: D3F30058 0D625998
	v_mfma_f32_16x16x32_fp8_fp8 v[84:87], a[138:139], v[46:47], v[84:87]// 00000000D7C4: D3F30054 0D525D8A
	v_mfma_f32_16x16x32_fp8_fp8 v[88:91], a[154:155], v[46:47], v[88:91]// 00000000D7CC: D3F30058 0D625D9A
	s_waitcnt lgkmcnt(4)                                       // 00000000D7D4: BF8CC47F
	v_mfma_f32_16x16x32_fp8_fp8 v[84:87], a[140:141], v[48:49], v[84:87]// 00000000D7D8: D3F30054 0D52618C
	v_mfma_f32_16x16x32_fp8_fp8 v[88:91], a[156:157], v[48:49], v[88:91]// 00000000D7E0: D3F30058 0D62619C
	v_mfma_f32_16x16x32_fp8_fp8 v[84:87], a[142:143], v[50:51], v[84:87]// 00000000D7E8: D3F30054 0D52658E
	v_mfma_f32_16x16x32_fp8_fp8 v[88:91], a[158:159], v[50:51], v[88:91]// 00000000D7F0: D3F30058 0D62659E
	s_waitcnt lgkmcnt(3)                                       // 00000000D7F8: BF8CC37F
	v_mfma_f32_16x16x32_fp8_fp8 v[92:95], a[128:129], v[52:53], 0// 00000000D7FC: D3F3005C 0A026980
	v_mfma_f32_16x16x32_fp8_fp8 v[96:99], a[144:145], v[52:53], 0// 00000000D804: D3F30060 0A026990
	v_mfma_f32_16x16x32_fp8_fp8 v[92:95], a[130:131], v[54:55], v[92:95]// 00000000D80C: D3F3005C 0D726D82
	v_mfma_f32_16x16x32_fp8_fp8 v[96:99], a[146:147], v[54:55], v[96:99]// 00000000D814: D3F30060 0D826D92
	s_waitcnt lgkmcnt(2)                                       // 00000000D81C: BF8CC27F
	v_mfma_f32_16x16x32_fp8_fp8 v[92:95], a[132:133], v[56:57], v[92:95]// 00000000D820: D3F3005C 0D727184
	v_mfma_f32_16x16x32_fp8_fp8 v[96:99], a[148:149], v[56:57], v[96:99]// 00000000D828: D3F30060 0D827194
	v_mfma_f32_16x16x32_fp8_fp8 v[92:95], a[134:135], v[58:59], v[92:95]// 00000000D830: D3F3005C 0D727586
	v_mfma_f32_16x16x32_fp8_fp8 v[96:99], a[150:151], v[58:59], v[96:99]// 00000000D838: D3F30060 0D827596
	s_waitcnt lgkmcnt(1)                                       // 00000000D840: BF8CC17F
	v_mfma_f32_16x16x32_fp8_fp8 v[92:95], a[136:137], v[60:61], v[92:95]// 00000000D844: D3F3005C 0D727988
	v_mfma_f32_16x16x32_fp8_fp8 v[96:99], a[152:153], v[60:61], v[96:99]// 00000000D84C: D3F30060 0D827998
	v_mfma_f32_16x16x32_fp8_fp8 v[92:95], a[138:139], v[62:63], v[92:95]// 00000000D854: D3F3005C 0D727D8A
	v_mfma_f32_16x16x32_fp8_fp8 v[96:99], a[154:155], v[62:63], v[96:99]// 00000000D85C: D3F30060 0D827D9A
	s_waitcnt lgkmcnt(0)                                       // 00000000D864: BF8CC07F
	v_mfma_f32_16x16x32_fp8_fp8 v[92:95], a[140:141], v[64:65], v[92:95]// 00000000D868: D3F3005C 0D72818C
	v_mfma_f32_16x16x32_fp8_fp8 v[96:99], a[156:157], v[64:65], v[96:99]// 00000000D870: D3F30060 0D82819C
	v_mfma_f32_16x16x32_fp8_fp8 v[92:95], a[142:143], v[66:67], v[92:95]// 00000000D878: D3F3005C 0D72858E
	v_mfma_f32_16x16x32_fp8_fp8 v[96:99], a[158:159], v[66:67], v[96:99]// 00000000D880: D3F30060 0D82859E
	s_addk_i32 s64, 0x100                                      // 00000000D888: B7400100
	s_branch label_1A7A                                        // 00000000D88C: BF82EDD6

000000000000d890 <label_2CA4>:
	v_pk_mul_f32 v[100:101], v[160:161], v[100:101]            // 00000000D890: D3B14064 1802C9A0
	v_pk_mul_f32 v[102:103], v[160:161], v[102:103]            // 00000000D898: D3B14066 1802CDA0
	v_pk_mul_f32 v[104:105], v[160:161], v[104:105]            // 00000000D8A0: D3B14068 1802D1A0
	v_pk_mul_f32 v[106:107], v[160:161], v[106:107]            // 00000000D8A8: D3B1406A 1802D5A0
	v_pk_mul_f32 v[108:109], v[162:163], v[108:109]            // 00000000D8B0: D3B1406C 1802D9A2
	v_pk_mul_f32 v[110:111], v[162:163], v[110:111]            // 00000000D8B8: D3B1406E 1802DDA2
	v_pk_mul_f32 v[112:113], v[162:163], v[112:113]            // 00000000D8C0: D3B14070 1802E1A2
	v_pk_mul_f32 v[114:115], v[162:163], v[114:115]            // 00000000D8C8: D3B14072 1802E5A2
	v_pk_mul_f32 v[116:117], v[164:165], v[116:117]            // 00000000D8D0: D3B14074 1802E9A4
	v_pk_mul_f32 v[118:119], v[164:165], v[118:119]            // 00000000D8D8: D3B14076 1802EDA4
	v_pk_mul_f32 v[120:121], v[164:165], v[120:121]            // 00000000D8E0: D3B14078 1802F1A4
	v_pk_mul_f32 v[122:123], v[164:165], v[122:123]            // 00000000D8E8: D3B1407A 1802F5A4
	v_pk_mul_f32 v[124:125], v[166:167], v[124:125]            // 00000000D8F0: D3B1407C 1802F9A6
	v_pk_mul_f32 v[126:127], v[166:167], v[126:127]            // 00000000D8F8: D3B1407E 1802FDA6
	v_pk_mul_f32 v[128:129], v[166:167], v[128:129]            // 00000000D900: D3B14080 180301A6
	v_pk_mul_f32 v[130:131], v[166:167], v[130:131]            // 00000000D908: D3B14082 180305A6
	ds_bpermute_b32 v180, v200, v168                           // 00000000D910: D87E0000 B400A8C8
	ds_bpermute_b32 v181, v201, v168                           // 00000000D918: D87E0000 B500A8C9
	ds_bpermute_b32 v182, v202, v168                           // 00000000D920: D87E0000 B600A8CA
	ds_bpermute_b32 v183, v200, v170                           // 00000000D928: D87E0000 B700AAC8
	ds_bpermute_b32 v184, v201, v170                           // 00000000D930: D87E0000 B800AAC9
	ds_bpermute_b32 v185, v202, v170                           // 00000000D938: D87E0000 B900AACA
	ds_bpermute_b32 v186, v200, v172                           // 00000000D940: D87E0000 BA00ACC8
	ds_bpermute_b32 v187, v201, v172                           // 00000000D948: D87E0000 BB00ACC9
	ds_bpermute_b32 v188, v202, v172                           // 00000000D950: D87E0000 BC00ACCA
	ds_bpermute_b32 v189, v200, v174                           // 00000000D958: D87E0000 BD00AEC8
	ds_bpermute_b32 v190, v201, v174                           // 00000000D960: D87E0000 BE00AEC9
	ds_bpermute_b32 v191, v202, v174                           // 00000000D968: D87E0000 BF00AECA
	s_waitcnt lgkmcnt(0)                                       // 00000000D970: BF8CC07F
	v_add_f32_e32 v168, v180, v168                             // 00000000D974: 035151B4
	v_add_f32_e32 v168, v181, v168                             // 00000000D978: 035151B5
	v_add_f32_e32 v168, v182, v168                             // 00000000D97C: 035151B6
	v_add_f32_e32 v169, v183, v170                             // 00000000D980: 035355B7
	v_add_f32_e32 v169, v184, v169                             // 00000000D984: 035353B8
	v_add_f32_e32 v169, v185, v169                             // 00000000D988: 035353B9
	v_add_f32_e32 v170, v186, v172                             // 00000000D98C: 035559BA
	v_add_f32_e32 v170, v187, v170                             // 00000000D990: 035555BB
	v_add_f32_e32 v170, v188, v170                             // 00000000D994: 035555BC
	v_add_f32_e32 v171, v189, v174                             // 00000000D998: 03575DBD
	v_add_f32_e32 v171, v190, v171                             // 00000000D99C: 035757BE
	v_add_f32_e32 v171, v191, v171                             // 00000000D9A0: 035757BF
	ds_write_b128 v247, v[168:171]                             // 00000000D9A4: D9BE0000 0000A8F7
	v_pk_mul_f32 v[68:69], v[144:145], v[68:69]                // 00000000D9AC: D3B14044 18028990
	v_pk_mul_f32 v[70:71], v[144:145], v[70:71]                // 00000000D9B4: D3B14046 18028D90
	v_pk_mul_f32 v[72:73], v[144:145], v[72:73]                // 00000000D9BC: D3B14048 18029190
	v_pk_mul_f32 v[74:75], v[144:145], v[74:75]                // 00000000D9C4: D3B1404A 18029590
	v_pk_mul_f32 v[76:77], v[146:147], v[76:77]                // 00000000D9CC: D3B1404C 18029992
	v_pk_mul_f32 v[78:79], v[146:147], v[78:79]                // 00000000D9D4: D3B1404E 18029D92
	v_pk_mul_f32 v[80:81], v[146:147], v[80:81]                // 00000000D9DC: D3B14050 1802A192
	v_pk_mul_f32 v[82:83], v[146:147], v[82:83]                // 00000000D9E4: D3B14052 1802A592
	v_pk_mul_f32 v[84:85], v[148:149], v[84:85]                // 00000000D9EC: D3B14054 1802A994
	v_pk_mul_f32 v[86:87], v[148:149], v[86:87]                // 00000000D9F4: D3B14056 1802AD94
	v_pk_mul_f32 v[88:89], v[148:149], v[88:89]                // 00000000D9FC: D3B14058 1802B194
	v_pk_mul_f32 v[90:91], v[148:149], v[90:91]                // 00000000DA04: D3B1405A 1802B594
	v_pk_mul_f32 v[92:93], v[150:151], v[92:93]                // 00000000DA0C: D3B1405C 1802B996
	v_pk_mul_f32 v[94:95], v[150:151], v[94:95]                // 00000000DA14: D3B1405E 1802BD96
	v_pk_mul_f32 v[96:97], v[150:151], v[96:97]                // 00000000DA1C: D3B14060 1802C196
	v_pk_mul_f32 v[98:99], v[150:151], v[98:99]                // 00000000DA24: D3B14062 1802C596
	s_waitcnt lgkmcnt(0)                                       // 00000000DA2C: BF8CC07F
	s_barrier                                                  // 00000000DA30: BF8A0000
	ds_read_b128 v[180:183], v248                              // 00000000DA34: D9FE0000 B40000F8
	ds_read_b128 v[184:187], v248 offset:256                   // 00000000DA3C: D9FE0100 B80000F8
	ds_read_b128 v[188:191], v248 offset:512                   // 00000000DA44: D9FE0200 BC0000F8
	ds_read_b128 v[192:195], v248 offset:768                   // 00000000DA4C: D9FE0300 C00000F8
	v_pk_add_f32 v[100:101], v[100:101], v[68:69]              // 00000000DA54: D3B24064 18028964
	v_pk_add_f32 v[102:103], v[102:103], v[70:71]              // 00000000DA5C: D3B24066 18028D66
	v_pk_add_f32 v[104:105], v[104:105], v[72:73]              // 00000000DA64: D3B24068 18029168
	v_pk_add_f32 v[106:107], v[106:107], v[74:75]              // 00000000DA6C: D3B2406A 1802956A
	v_pk_add_f32 v[108:109], v[108:109], v[76:77]              // 00000000DA74: D3B2406C 1802996C
	v_pk_add_f32 v[110:111], v[110:111], v[78:79]              // 00000000DA7C: D3B2406E 18029D6E
	v_pk_add_f32 v[112:113], v[112:113], v[80:81]              // 00000000DA84: D3B24070 1802A170
	v_pk_add_f32 v[114:115], v[114:115], v[82:83]              // 00000000DA8C: D3B24072 1802A572
	v_pk_add_f32 v[116:117], v[116:117], v[84:85]              // 00000000DA94: D3B24074 1802A974
	v_pk_add_f32 v[118:119], v[118:119], v[86:87]              // 00000000DA9C: D3B24076 1802AD76
	v_pk_add_f32 v[120:121], v[120:121], v[88:89]              // 00000000DAA4: D3B24078 1802B178
	v_pk_add_f32 v[122:123], v[122:123], v[90:91]              // 00000000DAAC: D3B2407A 1802B57A
	v_pk_add_f32 v[124:125], v[124:125], v[92:93]              // 00000000DAB4: D3B2407C 1802B97C
	v_pk_add_f32 v[126:127], v[126:127], v[94:95]              // 00000000DABC: D3B2407E 1802BD7E
	v_pk_add_f32 v[128:129], v[128:129], v[96:97]              // 00000000DAC4: D3B24080 1802C180
	v_pk_add_f32 v[130:131], v[130:131], v[98:99]              // 00000000DACC: D3B24082 1802C582
	s_waitcnt lgkmcnt(0)                                       // 00000000DAD4: BF8CC07F
	v_mov_b64_e32 v[168:169], 0                                // 00000000DAD8: 7F507080
	v_mov_b64_e32 v[170:171], 0                                // 00000000DADC: 7F547080
	v_pk_add_f32 v[168:169], v[180:181], v[168:169]            // 00000000DAE0: D3B240A8 180351B4
	v_pk_add_f32 v[170:171], v[182:183], v[170:171]            // 00000000DAE8: D3B240AA 180355B6
	v_pk_add_f32 v[168:169], v[184:185], v[168:169]            // 00000000DAF0: D3B240A8 180351B8
	v_pk_add_f32 v[170:171], v[186:187], v[170:171]            // 00000000DAF8: D3B240AA 180355BA
	v_pk_add_f32 v[168:169], v[188:189], v[168:169]            // 00000000DB00: D3B240A8 180351BC
	v_pk_add_f32 v[170:171], v[190:191], v[170:171]            // 00000000DB08: D3B240AA 180355BE
	v_pk_add_f32 v[168:169], v[192:193], v[168:169]            // 00000000DB10: D3B240A8 180351C0
	v_pk_add_f32 v[170:171], v[194:195], v[170:171]            // 00000000DB18: D3B240AA 180355C2
	v_rcp_f32_e32 v180, v168                                   // 00000000DB20: 7F6845A8
	v_cmp_eq_u32_e64 s[54:55], 0, v168                         // 00000000DB24: D0CA0036 00035080
	s_nop 0                                                    // 00000000DB2C: BF800000
	v_cndmask_b32_e64 v180, v180, 0, s[54:55]                  // 00000000DB30: D10000B4 00D901B4
	v_rcp_f32_e32 v181, v169                                   // 00000000DB38: 7F6A45A9
	v_cmp_eq_u32_e64 s[54:55], 0, v169                         // 00000000DB3C: D0CA0036 00035280
	s_nop 0                                                    // 00000000DB44: BF800000
	v_cndmask_b32_e64 v181, v181, 0, s[54:55]                  // 00000000DB48: D10000B5 00D901B5
	v_rcp_f32_e32 v182, v170                                   // 00000000DB50: 7F6C45AA
	v_cmp_eq_u32_e64 s[54:55], 0, v170                         // 00000000DB54: D0CA0036 00035480
	s_nop 0                                                    // 00000000DB5C: BF800000
	v_cndmask_b32_e64 v182, v182, 0, s[54:55]                  // 00000000DB60: D10000B6 00D901B6
	v_rcp_f32_e32 v183, v171                                   // 00000000DB68: 7F6E45AB
	v_cmp_eq_u32_e64 s[54:55], 0, v171                         // 00000000DB6C: D0CA0036 00035680
	s_nop 0                                                    // 00000000DB74: BF800000
	v_cndmask_b32_e64 v183, v183, 0, s[54:55]                  // 00000000DB78: D10000B7 00D901B7
	v_mul_f32_e32 v100, v180, v100                             // 00000000DB80: 0AC8C9B4
	v_mul_f32_e32 v101, v180, v101                             // 00000000DB84: 0ACACBB4
	v_mul_f32_e32 v102, v180, v102                             // 00000000DB88: 0ACCCDB4
	v_mul_f32_e32 v103, v180, v103                             // 00000000DB8C: 0ACECFB4
	v_mul_f32_e32 v104, v180, v104                             // 00000000DB90: 0AD0D1B4
	v_mul_f32_e32 v105, v180, v105                             // 00000000DB94: 0AD2D3B4
	v_mul_f32_e32 v106, v180, v106                             // 00000000DB98: 0AD4D5B4
	v_mul_f32_e32 v107, v180, v107                             // 00000000DB9C: 0AD6D7B4
	v_mul_f32_e32 v108, v181, v108                             // 00000000DBA0: 0AD8D9B5
	v_mul_f32_e32 v109, v181, v109                             // 00000000DBA4: 0ADADBB5
	v_mul_f32_e32 v110, v181, v110                             // 00000000DBA8: 0ADCDDB5
	v_mul_f32_e32 v111, v181, v111                             // 00000000DBAC: 0ADEDFB5
	v_mul_f32_e32 v112, v181, v112                             // 00000000DBB0: 0AE0E1B5
	v_mul_f32_e32 v113, v181, v113                             // 00000000DBB4: 0AE2E3B5
	v_mul_f32_e32 v114, v181, v114                             // 00000000DBB8: 0AE4E5B5
	v_mul_f32_e32 v115, v181, v115                             // 00000000DBBC: 0AE6E7B5
	v_mul_f32_e32 v116, v182, v116                             // 00000000DBC0: 0AE8E9B6
	v_mul_f32_e32 v117, v182, v117                             // 00000000DBC4: 0AEAEBB6
	v_mul_f32_e32 v118, v182, v118                             // 00000000DBC8: 0AECEDB6
	v_mul_f32_e32 v119, v182, v119                             // 00000000DBCC: 0AEEEFB6
	v_mul_f32_e32 v120, v182, v120                             // 00000000DBD0: 0AF0F1B6
	v_mul_f32_e32 v121, v182, v121                             // 00000000DBD4: 0AF2F3B6
	v_mul_f32_e32 v122, v182, v122                             // 00000000DBD8: 0AF4F5B6
	v_mul_f32_e32 v123, v182, v123                             // 00000000DBDC: 0AF6F7B6
	v_mul_f32_e32 v124, v183, v124                             // 00000000DBE0: 0AF8F9B7
	v_mul_f32_e32 v125, v183, v125                             // 00000000DBE4: 0AFAFBB7
	v_mul_f32_e32 v126, v183, v126                             // 00000000DBE8: 0AFCFDB7
	v_mul_f32_e32 v127, v183, v127                             // 00000000DBEC: 0AFEFFB7
	v_mul_f32_e32 v128, v183, v128                             // 00000000DBF0: 0B0101B7
	v_mul_f32_e32 v129, v183, v129                             // 00000000DBF4: 0B0303B7
	v_mul_f32_e32 v130, v183, v130                             // 00000000DBF8: 0B0505B7
	v_mul_f32_e32 v131, v183, v131                             // 00000000DBFC: 0B0707B7
	s_cmp_eq_i32 s73, -1                                       // 00000000DC00: BF00C149
	s_cbranch_scc0 label_2E89                                  // 00000000DC04: BF840107
	v_cmp_u_f32_e64 s[98:99], v100, v100                       // 00000000DC08: D0480062 0002C964
	v_add3_u32 v207, v100, v210, 1                             // 00000000DC10: D1FF00CF 0207A564
	v_cndmask_b32_e64 v196, v207, v209, s[98:99]               // 00000000DC18: D10000C4 018BA3CF
	v_cmp_u_f32_e64 s[98:99], v101, v101                       // 00000000DC20: D0480062 0002CB65
	v_add3_u32 v207, v101, v210, 1                             // 00000000DC28: D1FF00CF 0207A565
	v_cndmask_b32_e64 v197, v207, v209, s[98:99]               // 00000000DC30: D10000C5 018BA3CF
	v_perm_b32 v100, v197, v196, s56                           // 00000000DC38: D1ED0064 00E389C5
	v_cmp_u_f32_e64 s[98:99], v102, v102                       // 00000000DC40: D0480062 0002CD66
	v_add3_u32 v207, v102, v210, 1                             // 00000000DC48: D1FF00CF 0207A566
	v_cndmask_b32_e64 v196, v207, v209, s[98:99]               // 00000000DC50: D10000C4 018BA3CF
	v_cmp_u_f32_e64 s[98:99], v103, v103                       // 00000000DC58: D0480062 0002CF67
	v_add3_u32 v207, v103, v210, 1                             // 00000000DC60: D1FF00CF 0207A567
	v_cndmask_b32_e64 v197, v207, v209, s[98:99]               // 00000000DC68: D10000C5 018BA3CF
	v_perm_b32 v101, v197, v196, s56                           // 00000000DC70: D1ED0065 00E389C5
	v_cmp_u_f32_e64 s[98:99], v104, v104                       // 00000000DC78: D0480062 0002D168
	v_add3_u32 v207, v104, v210, 1                             // 00000000DC80: D1FF00CF 0207A568
	v_cndmask_b32_e64 v196, v207, v209, s[98:99]               // 00000000DC88: D10000C4 018BA3CF
	v_cmp_u_f32_e64 s[98:99], v105, v105                       // 00000000DC90: D0480062 0002D369
	v_add3_u32 v207, v105, v210, 1                             // 00000000DC98: D1FF00CF 0207A569
	v_cndmask_b32_e64 v197, v207, v209, s[98:99]               // 00000000DCA0: D10000C5 018BA3CF
	v_perm_b32 v102, v197, v196, s56                           // 00000000DCA8: D1ED0066 00E389C5
	v_cmp_u_f32_e64 s[98:99], v106, v106                       // 00000000DCB0: D0480062 0002D56A
	v_add3_u32 v207, v106, v210, 1                             // 00000000DCB8: D1FF00CF 0207A56A
	v_cndmask_b32_e64 v196, v207, v209, s[98:99]               // 00000000DCC0: D10000C4 018BA3CF
	v_cmp_u_f32_e64 s[98:99], v107, v107                       // 00000000DCC8: D0480062 0002D76B
	v_add3_u32 v207, v107, v210, 1                             // 00000000DCD0: D1FF00CF 0207A56B
	v_cndmask_b32_e64 v197, v207, v209, s[98:99]               // 00000000DCD8: D10000C5 018BA3CF
	v_perm_b32 v103, v197, v196, s56                           // 00000000DCE0: D1ED0067 00E389C5
	v_cmp_u_f32_e64 s[98:99], v108, v108                       // 00000000DCE8: D0480062 0002D96C
	v_add3_u32 v207, v108, v210, 1                             // 00000000DCF0: D1FF00CF 0207A56C
	v_cndmask_b32_e64 v196, v207, v209, s[98:99]               // 00000000DCF8: D10000C4 018BA3CF
	v_cmp_u_f32_e64 s[98:99], v109, v109                       // 00000000DD00: D0480062 0002DB6D
	v_add3_u32 v207, v109, v210, 1                             // 00000000DD08: D1FF00CF 0207A56D
	v_cndmask_b32_e64 v197, v207, v209, s[98:99]               // 00000000DD10: D10000C5 018BA3CF
	v_perm_b32 v104, v197, v196, s56                           // 00000000DD18: D1ED0068 00E389C5
	v_cmp_u_f32_e64 s[98:99], v110, v110                       // 00000000DD20: D0480062 0002DD6E
	v_add3_u32 v207, v110, v210, 1                             // 00000000DD28: D1FF00CF 0207A56E
	v_cndmask_b32_e64 v196, v207, v209, s[98:99]               // 00000000DD30: D10000C4 018BA3CF
	v_cmp_u_f32_e64 s[98:99], v111, v111                       // 00000000DD38: D0480062 0002DF6F
	v_add3_u32 v207, v111, v210, 1                             // 00000000DD40: D1FF00CF 0207A56F
	v_cndmask_b32_e64 v197, v207, v209, s[98:99]               // 00000000DD48: D10000C5 018BA3CF
	v_perm_b32 v105, v197, v196, s56                           // 00000000DD50: D1ED0069 00E389C5
	v_cmp_u_f32_e64 s[98:99], v112, v112                       // 00000000DD58: D0480062 0002E170
	v_add3_u32 v207, v112, v210, 1                             // 00000000DD60: D1FF00CF 0207A570
	v_cndmask_b32_e64 v196, v207, v209, s[98:99]               // 00000000DD68: D10000C4 018BA3CF
	v_cmp_u_f32_e64 s[98:99], v113, v113                       // 00000000DD70: D0480062 0002E371
	v_add3_u32 v207, v113, v210, 1                             // 00000000DD78: D1FF00CF 0207A571
	v_cndmask_b32_e64 v197, v207, v209, s[98:99]               // 00000000DD80: D10000C5 018BA3CF
	v_perm_b32 v106, v197, v196, s56                           // 00000000DD88: D1ED006A 00E389C5
	v_cmp_u_f32_e64 s[98:99], v114, v114                       // 00000000DD90: D0480062 0002E572
	v_add3_u32 v207, v114, v210, 1                             // 00000000DD98: D1FF00CF 0207A572
	v_cndmask_b32_e64 v196, v207, v209, s[98:99]               // 00000000DDA0: D10000C4 018BA3CF
	v_cmp_u_f32_e64 s[98:99], v115, v115                       // 00000000DDA8: D0480062 0002E773
	v_add3_u32 v207, v115, v210, 1                             // 00000000DDB0: D1FF00CF 0207A573
	v_cndmask_b32_e64 v197, v207, v209, s[98:99]               // 00000000DDB8: D10000C5 018BA3CF
	v_perm_b32 v107, v197, v196, s56                           // 00000000DDC0: D1ED006B 00E389C5
	v_cmp_u_f32_e64 s[98:99], v116, v116                       // 00000000DDC8: D0480062 0002E974
	v_add3_u32 v207, v116, v210, 1                             // 00000000DDD0: D1FF00CF 0207A574
	v_cndmask_b32_e64 v196, v207, v209, s[98:99]               // 00000000DDD8: D10000C4 018BA3CF
	v_cmp_u_f32_e64 s[98:99], v117, v117                       // 00000000DDE0: D0480062 0002EB75
	v_add3_u32 v207, v117, v210, 1                             // 00000000DDE8: D1FF00CF 0207A575
	v_cndmask_b32_e64 v197, v207, v209, s[98:99]               // 00000000DDF0: D10000C5 018BA3CF
	v_perm_b32 v108, v197, v196, s56                           // 00000000DDF8: D1ED006C 00E389C5
	v_cmp_u_f32_e64 s[98:99], v118, v118                       // 00000000DE00: D0480062 0002ED76
	v_add3_u32 v207, v118, v210, 1                             // 00000000DE08: D1FF00CF 0207A576
	v_cndmask_b32_e64 v196, v207, v209, s[98:99]               // 00000000DE10: D10000C4 018BA3CF
	v_cmp_u_f32_e64 s[98:99], v119, v119                       // 00000000DE18: D0480062 0002EF77
	v_add3_u32 v207, v119, v210, 1                             // 00000000DE20: D1FF00CF 0207A577
	v_cndmask_b32_e64 v197, v207, v209, s[98:99]               // 00000000DE28: D10000C5 018BA3CF
	v_perm_b32 v109, v197, v196, s56                           // 00000000DE30: D1ED006D 00E389C5
	v_cmp_u_f32_e64 s[98:99], v120, v120                       // 00000000DE38: D0480062 0002F178
	v_add3_u32 v207, v120, v210, 1                             // 00000000DE40: D1FF00CF 0207A578
	v_cndmask_b32_e64 v196, v207, v209, s[98:99]               // 00000000DE48: D10000C4 018BA3CF
	v_cmp_u_f32_e64 s[98:99], v121, v121                       // 00000000DE50: D0480062 0002F379
	v_add3_u32 v207, v121, v210, 1                             // 00000000DE58: D1FF00CF 0207A579
	v_cndmask_b32_e64 v197, v207, v209, s[98:99]               // 00000000DE60: D10000C5 018BA3CF
	v_perm_b32 v110, v197, v196, s56                           // 00000000DE68: D1ED006E 00E389C5
	v_cmp_u_f32_e64 s[98:99], v122, v122                       // 00000000DE70: D0480062 0002F57A
	v_add3_u32 v207, v122, v210, 1                             // 00000000DE78: D1FF00CF 0207A57A
	v_cndmask_b32_e64 v196, v207, v209, s[98:99]               // 00000000DE80: D10000C4 018BA3CF
	v_cmp_u_f32_e64 s[98:99], v123, v123                       // 00000000DE88: D0480062 0002F77B
	v_add3_u32 v207, v123, v210, 1                             // 00000000DE90: D1FF00CF 0207A57B
	v_cndmask_b32_e64 v197, v207, v209, s[98:99]               // 00000000DE98: D10000C5 018BA3CF
	v_perm_b32 v111, v197, v196, s56                           // 00000000DEA0: D1ED006F 00E389C5
	v_cmp_u_f32_e64 s[98:99], v124, v124                       // 00000000DEA8: D0480062 0002F97C
	v_add3_u32 v207, v124, v210, 1                             // 00000000DEB0: D1FF00CF 0207A57C
	v_cndmask_b32_e64 v196, v207, v209, s[98:99]               // 00000000DEB8: D10000C4 018BA3CF
	v_cmp_u_f32_e64 s[98:99], v125, v125                       // 00000000DEC0: D0480062 0002FB7D
	v_add3_u32 v207, v125, v210, 1                             // 00000000DEC8: D1FF00CF 0207A57D
	v_cndmask_b32_e64 v197, v207, v209, s[98:99]               // 00000000DED0: D10000C5 018BA3CF
	v_perm_b32 v112, v197, v196, s56                           // 00000000DED8: D1ED0070 00E389C5
	v_cmp_u_f32_e64 s[98:99], v126, v126                       // 00000000DEE0: D0480062 0002FD7E
	v_add3_u32 v207, v126, v210, 1                             // 00000000DEE8: D1FF00CF 0207A57E
	v_cndmask_b32_e64 v196, v207, v209, s[98:99]               // 00000000DEF0: D10000C4 018BA3CF
	v_cmp_u_f32_e64 s[98:99], v127, v127                       // 00000000DEF8: D0480062 0002FF7F
	v_add3_u32 v207, v127, v210, 1                             // 00000000DF00: D1FF00CF 0207A57F
	v_cndmask_b32_e64 v197, v207, v209, s[98:99]               // 00000000DF08: D10000C5 018BA3CF
	v_perm_b32 v113, v197, v196, s56                           // 00000000DF10: D1ED0071 00E389C5
	v_cmp_u_f32_e64 s[98:99], v128, v128                       // 00000000DF18: D0480062 00030180
	v_add3_u32 v207, v128, v210, 1                             // 00000000DF20: D1FF00CF 0207A580
	v_cndmask_b32_e64 v196, v207, v209, s[98:99]               // 00000000DF28: D10000C4 018BA3CF
	v_cmp_u_f32_e64 s[98:99], v129, v129                       // 00000000DF30: D0480062 00030381
	v_add3_u32 v207, v129, v210, 1                             // 00000000DF38: D1FF00CF 0207A581
	v_cndmask_b32_e64 v197, v207, v209, s[98:99]               // 00000000DF40: D10000C5 018BA3CF
	v_perm_b32 v114, v197, v196, s56                           // 00000000DF48: D1ED0072 00E389C5
	v_cmp_u_f32_e64 s[98:99], v130, v130                       // 00000000DF50: D0480062 00030582
	v_add3_u32 v207, v130, v210, 1                             // 00000000DF58: D1FF00CF 0207A582
	v_cndmask_b32_e64 v196, v207, v209, s[98:99]               // 00000000DF60: D10000C4 018BA3CF
	v_cmp_u_f32_e64 s[98:99], v131, v131                       // 00000000DF68: D0480062 00030783
	v_add3_u32 v207, v131, v210, 1                             // 00000000DF70: D1FF00CF 0207A583
	v_cndmask_b32_e64 v197, v207, v209, s[98:99]               // 00000000DF78: D10000C5 018BA3CF
	v_perm_b32 v115, v197, v196, s56                           // 00000000DF80: D1ED0073 00E389C5
	ds_write_b64 v245, v[100:101] offset:8192                  // 00000000DF88: D89A2000 000064F5
	ds_write_b64 v245, v[102:103] offset:10496                 // 00000000DF90: D89A2900 000066F5
	ds_write_b64 v245, v[104:105] offset:12800                 // 00000000DF98: D89A3200 000068F5
	ds_write_b64 v245, v[106:107] offset:15104                 // 00000000DFA0: D89A3B00 00006AF5
	ds_write_b64 v245, v[108:109] offset:17408                 // 00000000DFA8: D89A4400 00006CF5
	ds_write_b64 v245, v[110:111] offset:19712                 // 00000000DFB0: D89A4D00 00006EF5
	ds_write_b64 v245, v[112:113] offset:22016                 // 00000000DFB8: D89A5600 000070F5
	ds_write_b64 v245, v[114:115] offset:24320                 // 00000000DFC0: D89A5F00 000072F5
	s_waitcnt lgkmcnt(0)                                       // 00000000DFC8: BF8CC07F
	s_barrier                                                  // 00000000DFCC: BF8A0000
	ds_read_b128 v[100:103], v246 offset:8192                  // 00000000DFD0: D9FE2000 640000F6
	ds_read_b128 v[104:107], v246 offset:12800                 // 00000000DFD8: D9FE3200 680000F6
	ds_read_b128 v[108:111], v246 offset:17408                 // 00000000DFE0: D9FE4400 6C0000F6
	ds_read_b128 v[112:115], v246 offset:22016                 // 00000000DFE8: D9FE5600 700000F6
	s_waitcnt lgkmcnt(3)                                       // 00000000DFF0: BF8CC37F
	buffer_store_dwordx4 v[100:103], v221, s[4:7], 0 offen     // 00000000DFF4: E07C1000 800164DD
	s_waitcnt lgkmcnt(2)                                       // 00000000DFFC: BF8CC27F
	buffer_store_dwordx4 v[104:107], v222, s[4:7], 0 offen     // 00000000E000: E07C1000 800168DE
	s_waitcnt lgkmcnt(1)                                       // 00000000E008: BF8CC17F
	buffer_store_dwordx4 v[108:111], v223, s[4:7], 0 offen     // 00000000E00C: E07C1000 80016CDF
	s_waitcnt lgkmcnt(0)                                       // 00000000E014: BF8CC07F
	buffer_store_dwordx4 v[112:115], v224, s[4:7], 0 offen     // 00000000E018: E07C1000 800170E0
	s_branch label_2EC3                                        // 00000000E020: BF82003A

000000000000e024 <label_2E89>:
	v_rcp_f32_e32 v199, 0x3fb8aa3b                             // 00000000E024: 7F8E44FF 3FB8AA3B
	v_log_f32_e32 v196, v168                                   // 00000000E02C: 7F8843A8
	v_mul_f32_e64 v197, v152, s46                              // 00000000E030: D10500C5 00005D98
	v_add_f32_e32 v203, v196, v197                             // 00000000E038: 03978BC4
	v_mul_f32_e32 v203, v203, v199                             // 00000000E03C: 0B978FCB
	buffer_store_dword v203, v233, s[32:35], 0 offen           // 00000000E040: E0701000 8008CBE9
	v_log_f32_e32 v196, v169                                   // 00000000E048: 7F8843A9
	v_mul_f32_e64 v197, v153, s46                              // 00000000E04C: D10500C5 00005D99
	v_add_f32_e32 v204, v196, v197                             // 00000000E054: 03998BC4
	v_mul_f32_e32 v204, v204, v199                             // 00000000E058: 0B998FCC
	buffer_store_dword v204, v234, s[32:35], 0 offen           // 00000000E05C: E0701000 8008CCEA
	v_log_f32_e32 v196, v170                                   // 00000000E064: 7F8843AA
	v_mul_f32_e64 v197, v154, s46                              // 00000000E068: D10500C5 00005D9A
	v_add_f32_e32 v205, v196, v197                             // 00000000E070: 039B8BC4
	v_mul_f32_e32 v205, v205, v199                             // 00000000E074: 0B9B8FCD
	buffer_store_dword v205, v235, s[32:35], 0 offen           // 00000000E078: E0701000 8008CDEB
	v_log_f32_e32 v196, v171                                   // 00000000E080: 7F8843AB
	v_mul_f32_e64 v197, v155, s46                              // 00000000E084: D10500C5 00005D9B
	v_add_f32_e32 v206, v196, v197                             // 00000000E08C: 039D8BC4
	v_mul_f32_e32 v206, v206, v199                             // 00000000E090: 0B9D8FCE
	buffer_store_dword v206, v236, s[32:35], 0 offen           // 00000000E094: E0701000 8008CEEC
	v_add_u32_e32 v196, 0, v237                                // 00000000E09C: 6989DA80
	buffer_store_dwordx4 v[100:103], v196, s[28:31], 0 offen   // 00000000E0A0: E07C1000 800764C4
	v_add_u32_e32 v196, 0x100, v237                            // 00000000E0A8: 6989DAFF 00000100
	buffer_store_dwordx4 v[104:107], v196, s[28:31], 0 offen   // 00000000E0B0: E07C1000 800768C4
	v_add_u32_e32 v196, 0, v238                                // 00000000E0B8: 6989DC80
	buffer_store_dwordx4 v[108:111], v196, s[28:31], 0 offen   // 00000000E0BC: E07C1000 80076CC4
	v_add_u32_e32 v196, 0x100, v238                            // 00000000E0C4: 6989DCFF 00000100
	buffer_store_dwordx4 v[112:115], v196, s[28:31], 0 offen   // 00000000E0CC: E07C1000 800770C4
	v_add_u32_e32 v196, 0, v239                                // 00000000E0D4: 6989DE80
	buffer_store_dwordx4 v[116:119], v196, s[28:31], 0 offen   // 00000000E0D8: E07C1000 800774C4
	v_add_u32_e32 v196, 0x100, v239                            // 00000000E0E0: 6989DEFF 00000100
	buffer_store_dwordx4 v[120:123], v196, s[28:31], 0 offen   // 00000000E0E8: E07C1000 800778C4
	v_add_u32_e32 v196, 0, v240                                // 00000000E0F0: 6989E080
	buffer_store_dwordx4 v[124:127], v196, s[28:31], 0 offen   // 00000000E0F4: E07C1000 80077CC4
	v_add_u32_e32 v196, 0x100, v240                            // 00000000E0FC: 6989E0FF 00000100
	buffer_store_dwordx4 v[128:131], v196, s[28:31], 0 offen   // 00000000E104: E07C1000 800780C4

000000000000e10c <label_2EC3>:
	s_addk_i32 s80, 0x1                                        // 00000000E10C: B7500001
	s_branch label_0255                                        // 00000000E110: BF82D390

000000000000e114 <label_2EC5>:
	s_waitcnt vmcnt(0) expcnt(0) lgkmcnt(0)                    // 00000000E114: BF8C0000
	s_endpgm                                                   // 00000000E118: BF810000
